;; amdgpu-corpus repo=ROCm/rocFFT kind=compiled arch=gfx906 opt=O3
	.text
	.amdgcn_target "amdgcn-amd-amdhsa--gfx906"
	.amdhsa_code_object_version 6
	.protected	fft_rtc_fwd_len975_factors_13_5_3_5_wgs_117_tpt_39_halfLds_half_ip_CI_sbrr_dirReg ; -- Begin function fft_rtc_fwd_len975_factors_13_5_3_5_wgs_117_tpt_39_halfLds_half_ip_CI_sbrr_dirReg
	.globl	fft_rtc_fwd_len975_factors_13_5_3_5_wgs_117_tpt_39_halfLds_half_ip_CI_sbrr_dirReg
	.p2align	8
	.type	fft_rtc_fwd_len975_factors_13_5_3_5_wgs_117_tpt_39_halfLds_half_ip_CI_sbrr_dirReg,@function
fft_rtc_fwd_len975_factors_13_5_3_5_wgs_117_tpt_39_halfLds_half_ip_CI_sbrr_dirReg: ; @fft_rtc_fwd_len975_factors_13_5_3_5_wgs_117_tpt_39_halfLds_half_ip_CI_sbrr_dirReg
; %bb.0:
	s_load_dwordx2 s[2:3], s[4:5], 0x18
	s_load_dwordx4 s[8:11], s[4:5], 0x0
	s_load_dwordx2 s[14:15], s[4:5], 0x50
	v_mul_u32_u24_e32 v1, 0x691, v0
	v_lshrrev_b32_e32 v1, 16, v1
	s_waitcnt lgkmcnt(0)
	s_load_dwordx2 s[12:13], s[2:3], 0x0
	v_mad_u64_u32 v[2:3], s[0:1], s6, 3, v[1:2]
	v_mov_b32_e32 v6, 0
	v_cmp_lt_u64_e64 s[0:1], s[10:11], 2
	v_mov_b32_e32 v3, v6
	v_mov_b32_e32 v4, 0
	;; [unrolled: 1-line block ×3, first 2 shown]
	s_and_b64 vcc, exec, s[0:1]
	v_mov_b32_e32 v5, 0
	v_mov_b32_e32 v10, v2
	s_cbranch_vccnz .LBB0_8
; %bb.1:
	s_load_dwordx2 s[0:1], s[4:5], 0x10
	s_add_u32 s6, s2, 8
	s_addc_u32 s7, s3, 0
	v_mov_b32_e32 v4, 0
	v_mov_b32_e32 v9, v3
	s_waitcnt lgkmcnt(0)
	s_add_u32 s18, s0, 8
	s_mov_b64 s[16:17], 1
	v_mov_b32_e32 v5, 0
	s_addc_u32 s19, s1, 0
	v_mov_b32_e32 v8, v2
.LBB0_2:                                ; =>This Inner Loop Header: Depth=1
	s_load_dwordx2 s[20:21], s[18:19], 0x0
                                        ; implicit-def: $vgpr10_vgpr11
	s_waitcnt lgkmcnt(0)
	v_or_b32_e32 v7, s21, v9
	v_cmp_ne_u64_e32 vcc, 0, v[6:7]
	s_and_saveexec_b64 s[0:1], vcc
	s_xor_b64 s[22:23], exec, s[0:1]
	s_cbranch_execz .LBB0_4
; %bb.3:                                ;   in Loop: Header=BB0_2 Depth=1
	v_cvt_f32_u32_e32 v1, s20
	v_cvt_f32_u32_e32 v3, s21
	s_sub_u32 s0, 0, s20
	s_subb_u32 s1, 0, s21
	v_mac_f32_e32 v1, 0x4f800000, v3
	v_rcp_f32_e32 v1, v1
	v_mul_f32_e32 v1, 0x5f7ffffc, v1
	v_mul_f32_e32 v3, 0x2f800000, v1
	v_trunc_f32_e32 v3, v3
	v_mac_f32_e32 v1, 0xcf800000, v3
	v_cvt_u32_f32_e32 v3, v3
	v_cvt_u32_f32_e32 v1, v1
	v_mul_lo_u32 v7, s0, v3
	v_mul_hi_u32 v10, s0, v1
	v_mul_lo_u32 v12, s1, v1
	v_mul_lo_u32 v11, s0, v1
	v_add_u32_e32 v7, v10, v7
	v_add_u32_e32 v7, v7, v12
	v_mul_hi_u32 v10, v1, v11
	v_mul_lo_u32 v12, v1, v7
	v_mul_hi_u32 v14, v1, v7
	v_mul_hi_u32 v13, v3, v11
	v_mul_lo_u32 v11, v3, v11
	v_mul_hi_u32 v15, v3, v7
	v_add_co_u32_e32 v10, vcc, v10, v12
	v_addc_co_u32_e32 v12, vcc, 0, v14, vcc
	v_mul_lo_u32 v7, v3, v7
	v_add_co_u32_e32 v10, vcc, v10, v11
	v_addc_co_u32_e32 v10, vcc, v12, v13, vcc
	v_addc_co_u32_e32 v11, vcc, 0, v15, vcc
	v_add_co_u32_e32 v7, vcc, v10, v7
	v_addc_co_u32_e32 v10, vcc, 0, v11, vcc
	v_add_co_u32_e32 v1, vcc, v1, v7
	v_addc_co_u32_e32 v3, vcc, v3, v10, vcc
	v_mul_lo_u32 v7, s0, v3
	v_mul_hi_u32 v10, s0, v1
	v_mul_lo_u32 v11, s1, v1
	v_mul_lo_u32 v12, s0, v1
	v_add_u32_e32 v7, v10, v7
	v_add_u32_e32 v7, v7, v11
	v_mul_lo_u32 v13, v1, v7
	v_mul_hi_u32 v14, v1, v12
	v_mul_hi_u32 v15, v1, v7
	;; [unrolled: 1-line block ×3, first 2 shown]
	v_mul_lo_u32 v12, v3, v12
	v_mul_hi_u32 v10, v3, v7
	v_add_co_u32_e32 v13, vcc, v14, v13
	v_addc_co_u32_e32 v14, vcc, 0, v15, vcc
	v_mul_lo_u32 v7, v3, v7
	v_add_co_u32_e32 v12, vcc, v13, v12
	v_addc_co_u32_e32 v11, vcc, v14, v11, vcc
	v_addc_co_u32_e32 v10, vcc, 0, v10, vcc
	v_add_co_u32_e32 v7, vcc, v11, v7
	v_addc_co_u32_e32 v10, vcc, 0, v10, vcc
	v_add_co_u32_e32 v1, vcc, v1, v7
	v_addc_co_u32_e32 v3, vcc, v3, v10, vcc
	v_mad_u64_u32 v[10:11], s[0:1], v8, v3, 0
	v_mul_hi_u32 v7, v8, v1
	v_mad_u64_u32 v[12:13], s[0:1], v9, v3, 0
	v_add_co_u32_e32 v7, vcc, v7, v10
	v_addc_co_u32_e32 v14, vcc, 0, v11, vcc
	v_mad_u64_u32 v[10:11], s[0:1], v9, v1, 0
	v_add_co_u32_e32 v1, vcc, v7, v10
	v_addc_co_u32_e32 v1, vcc, v14, v11, vcc
	v_addc_co_u32_e32 v3, vcc, 0, v13, vcc
	v_add_co_u32_e32 v1, vcc, v1, v12
	v_addc_co_u32_e32 v3, vcc, 0, v3, vcc
	v_mul_lo_u32 v7, s21, v1
	v_mul_lo_u32 v12, s20, v3
	v_mad_u64_u32 v[10:11], s[0:1], s20, v1, 0
	v_add3_u32 v7, v11, v12, v7
	v_sub_u32_e32 v11, v9, v7
	v_mov_b32_e32 v12, s21
	v_sub_co_u32_e32 v10, vcc, v8, v10
	v_subb_co_u32_e64 v11, s[0:1], v11, v12, vcc
	v_subrev_co_u32_e64 v12, s[0:1], s20, v10
	v_subbrev_co_u32_e64 v11, s[0:1], 0, v11, s[0:1]
	v_cmp_le_u32_e64 s[0:1], s21, v11
	v_cndmask_b32_e64 v13, 0, -1, s[0:1]
	v_cmp_le_u32_e64 s[0:1], s20, v12
	v_cndmask_b32_e64 v12, 0, -1, s[0:1]
	v_cmp_eq_u32_e64 s[0:1], s21, v11
	v_cndmask_b32_e64 v11, v13, v12, s[0:1]
	v_add_co_u32_e64 v12, s[0:1], 2, v1
	v_addc_co_u32_e64 v13, s[0:1], 0, v3, s[0:1]
	v_add_co_u32_e64 v14, s[0:1], 1, v1
	v_addc_co_u32_e64 v15, s[0:1], 0, v3, s[0:1]
	v_subb_co_u32_e32 v7, vcc, v9, v7, vcc
	v_cmp_ne_u32_e64 s[0:1], 0, v11
	v_cmp_le_u32_e32 vcc, s21, v7
	v_cndmask_b32_e64 v11, v15, v13, s[0:1]
	v_cndmask_b32_e64 v13, 0, -1, vcc
	v_cmp_le_u32_e32 vcc, s20, v10
	v_cndmask_b32_e64 v10, 0, -1, vcc
	v_cmp_eq_u32_e32 vcc, s21, v7
	v_cndmask_b32_e32 v7, v13, v10, vcc
	v_cmp_ne_u32_e32 vcc, 0, v7
	v_cndmask_b32_e32 v11, v3, v11, vcc
	v_cndmask_b32_e64 v3, v14, v12, s[0:1]
	v_cndmask_b32_e32 v10, v1, v3, vcc
.LBB0_4:                                ;   in Loop: Header=BB0_2 Depth=1
	s_andn2_saveexec_b64 s[0:1], s[22:23]
	s_cbranch_execz .LBB0_6
; %bb.5:                                ;   in Loop: Header=BB0_2 Depth=1
	v_cvt_f32_u32_e32 v1, s20
	s_sub_i32 s22, 0, s20
	v_mov_b32_e32 v11, v6
	v_rcp_iflag_f32_e32 v1, v1
	v_mul_f32_e32 v1, 0x4f7ffffe, v1
	v_cvt_u32_f32_e32 v1, v1
	v_mul_lo_u32 v3, s22, v1
	v_mul_hi_u32 v3, v1, v3
	v_add_u32_e32 v1, v1, v3
	v_mul_hi_u32 v1, v8, v1
	v_mul_lo_u32 v3, v1, s20
	v_add_u32_e32 v7, 1, v1
	v_sub_u32_e32 v3, v8, v3
	v_subrev_u32_e32 v10, s20, v3
	v_cmp_le_u32_e32 vcc, s20, v3
	v_cndmask_b32_e32 v3, v3, v10, vcc
	v_cndmask_b32_e32 v1, v1, v7, vcc
	v_add_u32_e32 v7, 1, v1
	v_cmp_le_u32_e32 vcc, s20, v3
	v_cndmask_b32_e32 v10, v1, v7, vcc
.LBB0_6:                                ;   in Loop: Header=BB0_2 Depth=1
	s_or_b64 exec, exec, s[0:1]
	v_mul_lo_u32 v1, v11, s20
	v_mul_lo_u32 v3, v10, s21
	v_mad_u64_u32 v[12:13], s[0:1], v10, s20, 0
	s_load_dwordx2 s[0:1], s[6:7], 0x0
	s_add_u32 s16, s16, 1
	v_add3_u32 v1, v13, v3, v1
	v_sub_co_u32_e32 v3, vcc, v8, v12
	v_subb_co_u32_e32 v1, vcc, v9, v1, vcc
	s_waitcnt lgkmcnt(0)
	v_mul_lo_u32 v1, s0, v1
	v_mul_lo_u32 v7, s1, v3
	v_mad_u64_u32 v[4:5], s[0:1], s0, v3, v[4:5]
	s_addc_u32 s17, s17, 0
	s_add_u32 s6, s6, 8
	v_add3_u32 v5, v7, v5, v1
	v_mov_b32_e32 v7, s10
	v_mov_b32_e32 v8, s11
	s_addc_u32 s7, s7, 0
	v_cmp_ge_u64_e32 vcc, s[16:17], v[7:8]
	s_add_u32 s18, s18, 8
	s_addc_u32 s19, s19, 0
	s_cbranch_vccnz .LBB0_8
; %bb.7:                                ;   in Loop: Header=BB0_2 Depth=1
	v_mov_b32_e32 v8, v10
	v_mov_b32_e32 v9, v11
	s_branch .LBB0_2
.LBB0_8:
	s_lshl_b64 s[0:1], s[10:11], 3
	s_add_u32 s0, s2, s0
	s_addc_u32 s1, s3, s1
	s_load_dwordx2 s[2:3], s[0:1], 0x0
	s_load_dwordx2 s[6:7], s[4:5], 0x20
	v_mov_b32_e32 v17, 0
	v_mov_b32_e32 v43, 0
                                        ; implicit-def: $vgpr44
                                        ; implicit-def: $vgpr30
                                        ; implicit-def: $vgpr45
                                        ; implicit-def: $vgpr46
                                        ; implicit-def: $vgpr47
                                        ; implicit-def: $vgpr48
                                        ; implicit-def: $vgpr7
                                        ; implicit-def: $vgpr49
                                        ; implicit-def: $vgpr8
                                        ; implicit-def: $vgpr50
                                        ; implicit-def: $vgpr9
                                        ; implicit-def: $vgpr18
                                        ; implicit-def: $vgpr37
                                        ; implicit-def: $vgpr19
                                        ; implicit-def: $vgpr36
                                        ; implicit-def: $vgpr20
                                        ; implicit-def: $vgpr35
                                        ; implicit-def: $vgpr21
                                        ; implicit-def: $vgpr34
                                        ; implicit-def: $vgpr22
                                        ; implicit-def: $vgpr32
                                        ; implicit-def: $vgpr23
                                        ; implicit-def: $vgpr31
                                        ; implicit-def: $vgpr29
                                        ; implicit-def: $vgpr42
                                        ; implicit-def: $vgpr24
                                        ; implicit-def: $vgpr41
                                        ; implicit-def: $vgpr25
                                        ; implicit-def: $vgpr40
                                        ; implicit-def: $vgpr26
                                        ; implicit-def: $vgpr39
                                        ; implicit-def: $vgpr27
                                        ; implicit-def: $vgpr38
                                        ; implicit-def: $vgpr28
                                        ; implicit-def: $vgpr33
                                        ; implicit-def: $vgpr56
                                        ; implicit-def: $vgpr16
                                        ; implicit-def: $vgpr55
                                        ; implicit-def: $vgpr15
                                        ; implicit-def: $vgpr54
                                        ; implicit-def: $vgpr14
                                        ; implicit-def: $vgpr53
                                        ; implicit-def: $vgpr13
                                        ; implicit-def: $vgpr52
                                        ; implicit-def: $vgpr12
                                        ; implicit-def: $vgpr51
	s_waitcnt lgkmcnt(0)
	v_mad_u64_u32 v[5:6], s[0:1], s2, v10, v[4:5]
	s_mov_b32 s0, 0x6906907
	v_mul_lo_u32 v1, s2, v11
	v_mul_lo_u32 v3, s3, v10
	v_mul_hi_u32 v4, v0, s0
	v_cmp_gt_u64_e32 vcc, s[6:7], v[10:11]
                                        ; implicit-def: $vgpr10
	v_add3_u32 v6, v3, v6, v1
	v_mul_u32_u24_e32 v1, 39, v4
	v_sub_u32_e32 v4, v0, v1
	v_lshlrev_b64 v[0:1], 2, v[5:6]
                                        ; implicit-def: $vgpr3
                                        ; implicit-def: $vgpr5
                                        ; implicit-def: $vgpr6
	s_and_saveexec_b64 s[2:3], vcc
	s_cbranch_execz .LBB0_12
; %bb.9:
	v_mad_u64_u32 v[5:6], s[0:1], s12, v4, 0
	v_add_u32_e32 v10, 0x4b, v4
	v_mov_b32_e32 v9, s15
	v_mov_b32_e32 v3, v6
	v_mad_u64_u32 v[6:7], s[0:1], s13, v4, v[3:4]
	v_mad_u64_u32 v[7:8], s[0:1], s12, v10, 0
	v_add_co_u32_e64 v11, s[0:1], s14, v0
	v_mov_b32_e32 v3, v8
	v_addc_co_u32_e64 v44, s[0:1], v9, v1, s[0:1]
	v_mad_u64_u32 v[8:9], s[0:1], s13, v10, v[3:4]
	v_add_u32_e32 v14, 0x96, v4
	v_mad_u64_u32 v[9:10], s[0:1], s12, v14, 0
	v_lshlrev_b64 v[5:6], 2, v[5:6]
	v_add_u32_e32 v34, 0x2a3, v4
	v_add_co_u32_e64 v12, s[0:1], v11, v5
	v_mov_b32_e32 v3, v10
	v_addc_co_u32_e64 v13, s[0:1], v44, v6, s[0:1]
	v_lshlrev_b64 v[5:6], 2, v[7:8]
	v_mad_u64_u32 v[7:8], s[0:1], s13, v14, v[3:4]
	v_add_u32_e32 v8, 0xe1, v4
	v_mad_u64_u32 v[14:15], s[0:1], s12, v8, 0
	v_add_co_u32_e64 v16, s[0:1], v11, v5
	v_mov_b32_e32 v10, v7
	v_mov_b32_e32 v3, v15
	v_addc_co_u32_e64 v17, s[0:1], v44, v6, s[0:1]
	v_lshlrev_b64 v[5:6], 2, v[9:10]
	v_mad_u64_u32 v[7:8], s[0:1], s13, v8, v[3:4]
	v_add_u32_e32 v10, 0x12c, v4
	v_mad_u64_u32 v[8:9], s[0:1], s12, v10, 0
	v_add_co_u32_e64 v18, s[0:1], v11, v5
	v_mov_b32_e32 v15, v7
	v_add_u32_e32 v7, 0x177, v4
	v_addc_co_u32_e64 v19, s[0:1], v44, v6, s[0:1]
	v_lshlrev_b64 v[5:6], 2, v[14:15]
	v_mov_b32_e32 v3, v9
	v_mad_u64_u32 v[14:15], s[0:1], s12, v7, 0
	v_mad_u64_u32 v[9:10], s[0:1], s13, v10, v[3:4]
	v_add_co_u32_e64 v20, s[0:1], v11, v5
	v_mov_b32_e32 v3, v15
	v_addc_co_u32_e64 v21, s[0:1], v44, v6, s[0:1]
	v_lshlrev_b64 v[5:6], 2, v[8:9]
	v_mad_u64_u32 v[7:8], s[0:1], s13, v7, v[3:4]
	v_add_u32_e32 v10, 0x1c2, v4
	v_mad_u64_u32 v[8:9], s[0:1], s12, v10, 0
	v_add_co_u32_e64 v22, s[0:1], v11, v5
	v_mov_b32_e32 v15, v7
	v_add_u32_e32 v7, 0x20d, v4
	v_addc_co_u32_e64 v23, s[0:1], v44, v6, s[0:1]
	v_lshlrev_b64 v[5:6], 2, v[14:15]
	v_mov_b32_e32 v3, v9
	v_mad_u64_u32 v[14:15], s[0:1], s12, v7, 0
	v_mad_u64_u32 v[9:10], s[0:1], s13, v10, v[3:4]
	v_add_co_u32_e64 v24, s[0:1], v11, v5
	v_mov_b32_e32 v3, v15
	v_addc_co_u32_e64 v25, s[0:1], v44, v6, s[0:1]
	v_lshlrev_b64 v[5:6], 2, v[8:9]
	v_mad_u64_u32 v[7:8], s[0:1], s13, v7, v[3:4]
	v_add_co_u32_e64 v26, s[0:1], v11, v5
	v_mov_b32_e32 v15, v7
	v_add_u32_e32 v7, 0x258, v4
	v_addc_co_u32_e64 v27, s[0:1], v44, v6, s[0:1]
	v_lshlrev_b64 v[5:6], 2, v[14:15]
	v_mad_u64_u32 v[14:15], s[0:1], s12, v7, 0
	v_add_co_u32_e64 v28, s[0:1], v11, v5
	v_mov_b32_e32 v3, v15
	v_addc_co_u32_e64 v29, s[0:1], v44, v6, s[0:1]
	v_mad_u64_u32 v[31:32], s[0:1], s13, v7, v[3:4]
	v_mad_u64_u32 v[32:33], s[0:1], s12, v34, 0
	v_mov_b32_e32 v15, v31
	global_load_dword v30, v[12:13], off
	global_load_dword v3, v[16:17], off
	;; [unrolled: 1-line block ×8, first 2 shown]
	v_lshlrev_b64 v[12:13], 2, v[14:15]
	v_mov_b32_e32 v14, v33
	v_mad_u64_u32 v[14:15], s[0:1], s13, v34, v[14:15]
	v_add_u32_e32 v19, 0x2ee, v4
	v_mad_u64_u32 v[15:16], s[0:1], s12, v19, 0
	v_add_co_u32_e64 v17, s[0:1], v11, v12
	v_mov_b32_e32 v33, v14
	v_mov_b32_e32 v14, v16
	v_addc_co_u32_e64 v18, s[0:1], v44, v13, s[0:1]
	v_mad_u64_u32 v[19:20], s[0:1], s13, v19, v[14:15]
	v_add_u32_e32 v24, 0x339, v4
	v_mad_u64_u32 v[20:21], s[0:1], s12, v24, 0
	v_lshlrev_b64 v[12:13], 2, v[32:33]
	v_mov_b32_e32 v16, v19
	v_add_co_u32_e64 v22, s[0:1], v11, v12
	v_mov_b32_e32 v14, v21
	v_addc_co_u32_e64 v23, s[0:1], v44, v13, s[0:1]
	v_lshlrev_b64 v[12:13], 2, v[15:16]
	v_mad_u64_u32 v[14:15], s[0:1], s13, v24, v[14:15]
	v_add_u32_e32 v19, 0x384, v4
	v_mad_u64_u32 v[15:16], s[0:1], s12, v19, 0
	v_add_co_u32_e64 v24, s[0:1], v11, v12
	v_mov_b32_e32 v21, v14
	v_mov_b32_e32 v14, v16
	v_addc_co_u32_e64 v25, s[0:1], v44, v13, s[0:1]
	v_lshlrev_b64 v[12:13], 2, v[20:21]
	v_mad_u64_u32 v[19:20], s[0:1], s13, v19, v[14:15]
	v_add_co_u32_e64 v20, s[0:1], v11, v12
	v_mov_b32_e32 v16, v19
	v_addc_co_u32_e64 v21, s[0:1], v44, v13, s[0:1]
	v_lshlrev_b64 v[12:13], 2, v[15:16]
	v_mov_b32_e32 v43, 0
	v_add_co_u32_e64 v26, s[0:1], v11, v12
	v_addc_co_u32_e64 v27, s[0:1], v44, v13, s[0:1]
	global_load_dword v12, v[17:18], off
	global_load_dword v13, v[22:23], off
	;; [unrolled: 1-line block ×5, first 2 shown]
	v_cmp_gt_u32_e64 s[0:1], 36, v4
	v_mov_b32_e32 v17, 0
                                        ; implicit-def: $vgpr33
                                        ; implicit-def: $vgpr28
                                        ; implicit-def: $vgpr38
                                        ; implicit-def: $vgpr27
                                        ; implicit-def: $vgpr39
                                        ; implicit-def: $vgpr26
                                        ; implicit-def: $vgpr40
                                        ; implicit-def: $vgpr25
                                        ; implicit-def: $vgpr41
                                        ; implicit-def: $vgpr24
                                        ; implicit-def: $vgpr42
                                        ; implicit-def: $vgpr29
                                        ; implicit-def: $vgpr31
                                        ; implicit-def: $vgpr23
                                        ; implicit-def: $vgpr32
                                        ; implicit-def: $vgpr22
                                        ; implicit-def: $vgpr34
                                        ; implicit-def: $vgpr21
                                        ; implicit-def: $vgpr35
                                        ; implicit-def: $vgpr20
                                        ; implicit-def: $vgpr36
                                        ; implicit-def: $vgpr19
                                        ; implicit-def: $vgpr37
                                        ; implicit-def: $vgpr18
	s_and_saveexec_b64 s[4:5], s[0:1]
	s_cbranch_execz .LBB0_11
; %bb.10:
	v_add_u32_e32 v21, 39, v4
	v_add_u32_e32 v23, 0x72, v4
	v_mad_u64_u32 v[17:18], s[0:1], s12, v21, 0
	v_mad_u64_u32 v[19:20], s[0:1], s12, v23, 0
	v_add_u32_e32 v25, 0x108, v4
	v_add_u32_e32 v27, 0x153, v4
	v_mad_u64_u32 v[21:22], s[0:1], s13, v21, v[18:19]
	v_add_u32_e32 v29, 0x19e, v4
	v_add_u32_e32 v33, 0x1e9, v4
	v_mov_b32_e32 v18, v21
	v_mad_u64_u32 v[20:21], s[0:1], s13, v23, v[20:21]
	v_add_u32_e32 v23, 0xbd, v4
	v_mad_u64_u32 v[21:22], s[0:1], s12, v23, 0
	v_lshlrev_b64 v[17:18], 2, v[17:18]
	v_lshlrev_b64 v[19:20], 2, v[19:20]
	v_add_co_u32_e64 v17, s[0:1], v11, v17
	v_addc_co_u32_e64 v18, s[0:1], v44, v18, s[0:1]
	v_mad_u64_u32 v[22:23], s[0:1], s13, v23, v[22:23]
	v_mad_u64_u32 v[23:24], s[0:1], s12, v25, 0
	v_add_co_u32_e64 v19, s[0:1], v11, v19
	v_addc_co_u32_e64 v20, s[0:1], v44, v20, s[0:1]
	v_mad_u64_u32 v[24:25], s[0:1], s13, v25, v[24:25]
	v_mad_u64_u32 v[25:26], s[0:1], s12, v27, 0
	v_lshlrev_b64 v[21:22], 2, v[21:22]
	v_lshlrev_b64 v[23:24], 2, v[23:24]
	v_add_co_u32_e64 v21, s[0:1], v11, v21
	v_addc_co_u32_e64 v22, s[0:1], v44, v22, s[0:1]
	v_mad_u64_u32 v[26:27], s[0:1], s13, v27, v[26:27]
	v_mad_u64_u32 v[27:28], s[0:1], s12, v29, 0
	v_add_co_u32_e64 v23, s[0:1], v11, v23
	v_addc_co_u32_e64 v24, s[0:1], v44, v24, s[0:1]
	v_mad_u64_u32 v[31:32], s[0:1], s12, v33, 0
	v_lshlrev_b64 v[25:26], 2, v[25:26]
	v_mad_u64_u32 v[28:29], s[0:1], s13, v29, v[28:29]
	v_add_co_u32_e64 v25, s[0:1], v11, v25
	v_mov_b32_e32 v29, v32
	v_addc_co_u32_e64 v26, s[0:1], v44, v26, s[0:1]
	s_waitcnt vmcnt(12)
	v_mad_u64_u32 v[32:33], s[0:1], s13, v33, v[29:30]
	v_add_u32_e32 v35, 0x234, v4
	v_mad_u64_u32 v[33:34], s[0:1], s12, v35, 0
	v_lshlrev_b64 v[27:28], 2, v[27:28]
	v_lshlrev_b64 v[31:32], 2, v[31:32]
	v_add_co_u32_e64 v27, s[0:1], v11, v27
	v_mov_b32_e32 v29, v34
	v_addc_co_u32_e64 v28, s[0:1], v44, v28, s[0:1]
	v_mad_u64_u32 v[34:35], s[0:1], s13, v35, v[29:30]
	v_add_co_u32_e64 v38, s[0:1], v11, v31
	v_addc_co_u32_e64 v39, s[0:1], v44, v32, s[0:1]
	v_lshlrev_b64 v[31:32], 2, v[33:34]
	v_add_u32_e32 v33, 0x27f, v4
	v_mad_u64_u32 v[40:41], s[0:1], s12, v33, 0
	v_add_co_u32_e64 v45, s[0:1], v11, v31
	v_mov_b32_e32 v29, v41
	v_addc_co_u32_e64 v46, s[0:1], v44, v32, s[0:1]
	v_mad_u64_u32 v[41:42], s[0:1], s13, v33, v[29:30]
	v_add_u32_e32 v29, 0x2ca, v4
	v_mad_u64_u32 v[47:48], s[0:1], s12, v29, 0
	global_load_dword v43, v[17:18], off
	global_load_dword v37, v[19:20], off
	global_load_dword v36, v[21:22], off
	global_load_dword v35, v[23:24], off
	global_load_dword v34, v[25:26], off
	global_load_dword v32, v[27:28], off
	global_load_dword v31, v[38:39], off
	global_load_dword v33, v[45:46], off
	v_add_u32_e32 v24, 0x315, v4
	v_mov_b32_e32 v19, v48
	v_mad_u64_u32 v[19:20], s[0:1], s13, v29, v[19:20]
	v_mad_u64_u32 v[20:21], s[0:1], s12, v24, 0
	v_lshlrev_b64 v[17:18], 2, v[40:41]
	v_mov_b32_e32 v48, v19
	v_add_co_u32_e64 v17, s[0:1], v11, v17
	v_mov_b32_e32 v19, v21
	v_addc_co_u32_e64 v18, s[0:1], v44, v18, s[0:1]
	v_mad_u64_u32 v[24:25], s[0:1], s13, v24, v[19:20]
	v_add_u32_e32 v27, 0x360, v4
	v_mad_u64_u32 v[25:26], s[0:1], s12, v27, 0
	v_lshlrev_b64 v[22:23], 2, v[47:48]
	v_mov_b32_e32 v21, v24
	v_add_co_u32_e64 v22, s[0:1], v11, v22
	v_lshlrev_b64 v[19:20], 2, v[20:21]
	v_mov_b32_e32 v21, v26
	v_addc_co_u32_e64 v23, s[0:1], v44, v23, s[0:1]
	v_mad_u64_u32 v[26:27], s[0:1], s13, v27, v[21:22]
	v_add_u32_e32 v29, 0x3ab, v4
	v_mad_u64_u32 v[27:28], s[0:1], s12, v29, 0
	v_add_co_u32_e64 v19, s[0:1], v11, v19
	v_mov_b32_e32 v21, v28
	v_addc_co_u32_e64 v20, s[0:1], v44, v20, s[0:1]
	v_mad_u64_u32 v[28:29], s[0:1], s13, v29, v[21:22]
	v_lshlrev_b64 v[24:25], 2, v[25:26]
	v_add_co_u32_e64 v24, s[0:1], v11, v24
	v_lshlrev_b64 v[26:27], 2, v[27:28]
	v_addc_co_u32_e64 v25, s[0:1], v44, v25, s[0:1]
	v_add_co_u32_e64 v26, s[0:1], v11, v26
	v_addc_co_u32_e64 v27, s[0:1], v44, v27, s[0:1]
	global_load_dword v38, v[17:18], off
	global_load_dword v39, v[22:23], off
	;; [unrolled: 1-line block ×5, first 2 shown]
	s_waitcnt vmcnt(12)
	v_lshrrev_b32_e32 v17, 16, v43
	s_waitcnt vmcnt(11)
	v_lshrrev_b32_e32 v18, 16, v37
	;; [unrolled: 2-line block ×13, first 2 shown]
.LBB0_11:
	s_or_b64 exec, exec, s[4:5]
	s_waitcnt vmcnt(12)
	v_lshrrev_b32_e32 v44, 16, v30
	s_waitcnt vmcnt(11)
	v_lshrrev_b32_e32 v45, 16, v3
	;; [unrolled: 2-line block ×13, first 2 shown]
.LBB0_12:
	s_or_b64 exec, exec, s[2:3]
	s_mov_b32 s0, 0xaaaaaaab
	v_mul_hi_u32 v11, v2, s0
	v_add_f16_e32 v57, v16, v3
	s_mov_b32 s4, 0x388b3b15
	v_sub_f16_e32 v62, v45, v56
	v_lshrrev_b32_e32 v11, 1, v11
	v_add_f16_e32 v60, v15, v5
	v_lshl_add_u32 v11, v11, 1, v11
	v_pk_mul_f16 v63, v57, s4 op_sel_hi:[0,1]
	s_mov_b32 s16, 0xba95b770
	s_mov_b32 s5, 0xb5ac388b
	v_sub_u32_e32 v2, v2, v11
	v_sub_f16_e32 v11, v46, v55
	v_pk_fma_f16 v58, v62, s16, v63 op_sel_hi:[0,1,1] neg_lo:[1,0,0] neg_hi:[1,0,0]
	v_pk_mul_f16 v64, v60, s5 op_sel_hi:[0,1]
	s_mov_b32 s17, 0xbb7bba95
	v_add_f16_e32 v61, v14, v6
	s_mov_b32 s6, 0xbbc42fb7
	v_pk_add_f16 v58, v58, v30 op_sel_hi:[1,0]
	v_pk_fma_f16 v59, v11, s17, v64 op_sel_hi:[0,1,1] neg_lo:[1,0,0] neg_hi:[1,0,0]
	s_mov_b32 s18, 0xb3a8bbf1
	v_sub_f16_e32 v65, v47, v54
	v_pk_mul_f16 v66, v61, s6 op_sel_hi:[0,1]
	s_mov_b32 s7, 0xb9fdb5ac
	v_add_f16_e32 v67, v13, v7
	v_pk_add_f16 v58, v58, v59
	v_pk_fma_f16 v59, v65, s18, v66 op_sel_hi:[0,1,1] neg_lo:[1,0,0] neg_hi:[1,0,0]
	s_mov_b32 s19, 0x394ebb7b
	v_sub_f16_e32 v68, v48, v53
	v_pk_mul_f16 v69, v67, s7 op_sel_hi:[0,1]
	s_mov_b32 s10, 0x2fb7b9fd
	v_add_f16_e32 v70, v12, v8
	v_pk_add_f16 v58, v58, v59
	v_pk_fma_f16 v59, v68, s19, v69 op_sel_hi:[0,1,1] neg_lo:[1,0,0] neg_hi:[1,0,0]
	s_mov_b32 s20, 0x3bf1b94e
	v_sub_f16_e32 v71, v49, v52
	v_pk_mul_f16 v72, v70, s10 op_sel_hi:[0,1]
	s_mov_b32 s22, 0xb5ac2fb7
	v_pk_add_f16 v58, v58, v59
	v_pk_fma_f16 v59, v71, s20, v72 op_sel_hi:[0,1,1] neg_lo:[1,0,0] neg_hi:[1,0,0]
	s_mov_b32 s30, 0xbb7bbbf1
	v_pk_mul_f16 v73, v57, s22 op_sel_hi:[0,1]
	s_mov_b32 s23, 0xb9fdbbc4
	v_pk_add_f16 v58, v58, v59
	v_pk_fma_f16 v59, v62, s30, v73 op_sel_hi:[0,1,1] neg_lo:[1,0,0] neg_hi:[1,0,0]
	s_mov_b32 s34, 0x394eb3a8
	v_pk_mul_f16 v74, v60, s23 op_sel_hi:[0,1]
	v_pk_add_f16 v59, v59, v30 op_sel_hi:[1,0]
	v_pk_fma_f16 v75, v11, s34, v74 op_sel_hi:[0,1,1] neg_lo:[1,0,0] neg_hi:[1,0,0]
	s_mov_b32 s24, 0x3b15b5ac
	v_pk_add_f16 v59, v59, v75
	s_mov_b32 s36, 0x37703b7b
	v_pk_mul_f16 v75, v61, s24 op_sel_hi:[0,1]
	v_pk_fma_f16 v76, v65, s36, v75 op_sel_hi:[0,1,1] neg_lo:[1,0,0] neg_hi:[1,0,0]
	s_mov_b32 s25, 0x2fb73b15
	v_pk_add_f16 v59, v59, v76
	s_mov_b32 s38, 0xbbf13770
	v_pk_mul_f16 v76, v67, s25 op_sel_hi:[0,1]
	v_pk_fma_f16 v77, v68, s38, v76 op_sel_hi:[0,1,1] neg_lo:[1,0,0] neg_hi:[1,0,0]
	s_mov_b32 s27, 0xbbc4388b
	v_pk_add_f16 v59, v59, v77
	s_mov_b32 s39, 0x33a8ba95
	v_pk_mul_f16 v77, v70, s27 op_sel_hi:[0,1]
	v_pk_fma_f16 v78, v71, s39, v77 op_sel_hi:[0,1,1] neg_lo:[1,0,0] neg_hi:[1,0,0]
	v_pk_add_f16 v59, v59, v78
	s_mov_b32 s11, 0x3b15bbc4
	s_mov_b32 s31, 0x388bb9fd
	v_add_f16_e32 v78, v10, v9
	s_mov_b32 s21, 0x3770b3a8
	s_mov_b32 s42, 0x3a95b94e
	v_sub_f16_e32 v79, v50, v51
	v_pk_mul_f16 v80, v78, s11 op_sel_hi:[0,1]
	v_pk_mul_f16 v82, v78, s31 op_sel_hi:[0,1]
	s_mov_b32 s26, 0xbbc4b9fd
	v_pk_fma_f16 v81, v79, s21, v80 op_sel_hi:[0,1,1] neg_lo:[1,0,0] neg_hi:[1,0,0]
	v_pk_fma_f16 v83, v79, s42, v82 op_sel_hi:[0,1,1] neg_lo:[1,0,0] neg_hi:[1,0,0]
	v_pk_mul_f16 v57, v57, s26 op_sel_hi:[0,1]
	s_mov_b32 s40, 0xb3a8b94e
	s_mov_b32 s28, 0x3b152fb7
	v_pk_add_f16 v58, v58, v81
	v_pk_add_f16 v59, v59, v83
	v_pk_fma_f16 v81, v62, s40, v57 op_sel_hi:[0,1,1] neg_lo:[1,0,0] neg_hi:[1,0,0]
	v_pk_mul_f16 v83, v60, s28 op_sel_hi:[0,1]
	s_mov_b32 s41, 0x37703bf1
	s_mov_b32 s29, 0xb9fd388b
	v_pk_add_f16 v81, v81, v30 op_sel_hi:[1,0]
	v_pk_fma_f16 v60, v11, s41, v83 op_sel_hi:[0,1,1] neg_lo:[1,0,0] neg_hi:[1,0,0]
	v_pk_mul_f16 v61, v61, s29 op_sel_hi:[0,1]
	s_mov_b32 s43, 0xb94eba95
	s_mov_b32 s33, 0x388bbbc4
	v_pk_add_f16 v60, v81, v60
	v_pk_fma_f16 v81, v65, s43, v61 op_sel_hi:[0,1,1] neg_lo:[1,0,0] neg_hi:[1,0,0]
	v_pk_mul_f16 v67, v67, s33 op_sel_hi:[0,1]
	s_mov_b32 s44, 0x3a9533a8
	s_mov_b32 s35, 0xb5ac3b15
	v_pk_add_f16 v60, v60, v81
	;; [unrolled: 5-line block ×3, first 2 shown]
	v_pk_fma_f16 v81, v71, s45, v70 op_sel_hi:[0,1,1] neg_lo:[1,0,0] neg_hi:[1,0,0]
	v_pk_mul_f16 v78, v78, s37 op_sel_hi:[0,1]
	s_mov_b32 s46, 0x3bf1bb7b
	v_pk_add_f16 v60, v60, v81
	v_pk_fma_f16 v81, v79, s46, v78 op_sel_hi:[0,1,1] neg_lo:[1,0,0] neg_hi:[1,0,0]
	v_pk_fma_f16 v57, v62, s40, v57 op_sel_hi:[0,1,1]
	v_pk_add_f16 v60, v60, v81
	v_pk_add_f16 v57, v57, v30 op_sel_hi:[1,0]
	v_pk_fma_f16 v81, v11, s41, v83 op_sel_hi:[0,1,1]
	v_pk_add_f16 v57, v57, v81
	v_pk_fma_f16 v61, v65, s43, v61 op_sel_hi:[0,1,1]
	v_pk_add_f16 v57, v57, v61
	;; [unrolled: 2-line block ×5, first 2 shown]
	v_alignbit_b32 v61, v57, v57, 16
	v_mul_u32_u24_e32 v2, 0x3cf, v2
	v_mad_u32_u24 v57, v4, 26, 0
	v_lshl_add_u32 v57, v2, 1, v57
	ds_write_b128 v57, v[58:61] offset:2
	v_pk_fma_f16 v58, v62, s30, v73 op_sel_hi:[0,1,1]
	v_pk_add_f16 v58, v58, v30 op_sel_hi:[1,0]
	v_pk_fma_f16 v59, v11, s34, v74 op_sel_hi:[0,1,1]
	v_pk_add_f16 v58, v58, v59
	v_pk_fma_f16 v59, v65, s36, v75 op_sel_hi:[0,1,1]
	v_pk_add_f16 v58, v58, v59
	;; [unrolled: 2-line block ×5, first 2 shown]
	v_pk_fma_f16 v58, v62, s16, v63 op_sel_hi:[0,1,1]
	v_pk_fma_f16 v11, v11, s17, v64 op_sel_hi:[0,1,1]
	v_pk_add_f16 v58, v58, v30 op_sel_hi:[1,0]
	v_pk_add_f16 v11, v58, v11
	v_pk_fma_f16 v58, v65, s18, v66 op_sel_hi:[0,1,1]
	v_pk_add_f16 v11, v11, v58
	v_pk_fma_f16 v58, v68, s19, v69 op_sel_hi:[0,1,1]
	;; [unrolled: 2-line block ×4, first 2 shown]
	v_add_f16_e32 v70, v37, v42
	v_pk_add_f16 v11, v11, v60
	v_add_f16_e32 v30, v30, v3
	v_sub_f16_e32 v58, v18, v29
	v_mul_f16_e32 v64, 0x3b15, v70
	s_mov_b32 s0, 0xb770
	v_alignbit_b32 v59, v59, v59, 16
	v_alignbit_b32 v60, v11, v11, 16
	v_add_f16_e32 v71, v36, v41
	v_add_f16_e32 v30, v30, v5
	v_fma_f16 v61, v58, s0, v64
	ds_write_b64 v57, v[59:60] offset:18
	v_sub_f16_e32 v59, v19, v24
	v_mul_f16_e32 v65, 0x388b, v71
	s_mov_b32 s47, 0xba95
	v_add_f16_e32 v72, v35, v40
	v_add_f16_e32 v30, v30, v6
	;; [unrolled: 1-line block ×3, first 2 shown]
	v_fma_f16 v11, v59, s47, v65
	s_mov_b32 s0, 0xbbf1
	v_sub_f16_e32 v60, v20, v25
	v_mul_f16_e32 v66, 0x2fb7, v72
	v_add_f16_e32 v30, v30, v7
	v_add_f16_e32 v11, v61, v11
	v_fma_f16 v61, v60, s0, v66
	v_add_f16_e32 v73, v34, v39
	v_add_f16_e32 v30, v30, v8
	v_add_f16_e32 v11, v11, v61
	s_mov_b32 s48, 0xbb7b
	v_sub_f16_e32 v61, v21, v26
	v_mul_f16_e32 v67, 0xb5ac, v73
	v_add_f16_e32 v30, v30, v9
	v_fma_f16 v62, v61, s48, v67
	v_add_f16_e32 v74, v32, v38
	v_add_f16_e32 v30, v30, v10
	v_add_f16_e32 v11, v11, v62
	s_mov_b32 s0, 0xb94e
	v_sub_f16_e32 v62, v22, v27
	v_mul_f16_e32 v68, 0xb9fd, v74
	v_add_f16_e32 v30, v12, v30
	v_fma_f16 v63, v62, s0, v68
	v_add_f16_e32 v75, v31, v33
	v_add_f16_e32 v30, v13, v30
	v_add_f16_e32 v11, v11, v63
	s_mov_b32 s49, 0xb3a8
	v_sub_f16_e32 v63, v23, v28
	v_mul_f16_e32 v69, 0xbbc4, v75
	v_add_f16_e32 v30, v14, v30
	v_fma_f16 v76, v63, s49, v69
	v_add_f16_e32 v30, v15, v30
	v_add_f16_e32 v11, v11, v76
	;; [unrolled: 1-line block ×3, first 2 shown]
	v_cmp_gt_u32_e64 s[0:1], 36, v4
	ds_write_b16 v57, v30
	s_and_saveexec_b64 s[2:3], s[0:1]
	s_cbranch_execz .LBB0_14
; %bb.13:
	v_pk_mul_f16 v82, v70, s26 op_sel_hi:[0,1]
	v_pk_mul_f16 v88, v70, s22 op_sel_hi:[0,1]
	v_mul_f16_e32 v70, 0x388b, v70
	v_pk_mul_f16 v85, v73, s33 op_sel_hi:[0,1]
	v_pk_mul_f16 v91, v73, s25 op_sel_hi:[0,1]
	v_fma_f16 v95, v58, s47, v70
	v_mul_f16_e32 v73, 0xb9fd, v73
	s_movk_i32 s47, 0x394e
	v_pk_mul_f16 v86, v74, s35 op_sel_hi:[0,1]
	v_pk_mul_f16 v92, v74, s27 op_sel_hi:[0,1]
	v_fma_f16 v99, v61, s47, v73
	v_mul_f16_e32 v74, 0x2fb7, v74
	s_movk_i32 s47, 0x3bf1
	;; [unrolled: 5-line block ×3, first 2 shown]
	v_mul_f16_e32 v30, 0xb770, v58
	v_mul_f16_e32 v94, 0xba95, v58
	v_fma_f16 v101, v63, s47, v75
	s_mov_b32 s47, 0x5040100
	v_mul_f16_e32 v76, 0xba95, v59
	v_pk_mul_f16 v83, v71, s28 op_sel_hi:[0,1]
	v_pk_mul_f16 v89, v71, s23 op_sel_hi:[0,1]
	v_mul_f16_e32 v71, 0xb5ac, v71
	v_mul_f16_e32 v96, 0xbb7b, v59
	v_perm_b32 v64, v70, v64, s47
	v_perm_b32 v30, v94, v30, s47
	v_add_f16_e32 v95, v43, v95
	v_fma_f16 v97, v59, s48, v71
	v_pk_add_f16 v30, v64, v30 neg_lo:[0,1] neg_hi:[0,1]
	v_perm_b32 v64, v71, v65, s47
	v_perm_b32 v65, v96, v76, s47
	v_mul_f16_e32 v77, 0xbbf1, v60
	v_pk_mul_f16 v84, v72, s29 op_sel_hi:[0,1]
	v_pk_mul_f16 v90, v72, s24 op_sel_hi:[0,1]
	v_add_f16_e32 v95, v95, v97
	v_mul_f16_e32 v72, 0xbbc4, v72
	v_mul_f16_e32 v97, 0xb3a8, v60
	v_pk_add_f16 v30, v43, v30 op_sel_hi:[0,1]
	v_pk_add_f16 v64, v64, v65 neg_lo:[0,1] neg_hi:[0,1]
	v_fma_f16 v98, v60, s49, v72
	v_pk_add_f16 v30, v30, v64
	v_perm_b32 v64, v72, v66, s47
	v_perm_b32 v65, v97, v77, s47
	v_mul_f16_e32 v78, 0xbb7b, v61
	v_add_f16_e32 v95, v95, v98
	v_mul_f16_e32 v98, 0x394e, v61
	v_pk_add_f16 v64, v64, v65 neg_lo:[0,1] neg_hi:[0,1]
	v_pk_add_f16 v30, v30, v64
	v_perm_b32 v64, v73, v67, s47
	v_perm_b32 v65, v98, v78, s47
	v_mul_f16_e32 v79, 0xb94e, v62
	v_add_f16_e32 v95, v95, v99
	v_mul_f16_e32 v99, 0x3bf1, v62
	v_pk_add_f16 v64, v64, v65 neg_lo:[0,1] neg_hi:[0,1]
	;; [unrolled: 7-line block ×3, first 2 shown]
	v_pk_add_f16 v30, v30, v64
	v_perm_b32 v64, v75, v69, s47
	v_perm_b32 v65, v100, v80, s47
	v_pk_add_f16 v64, v64, v65 neg_lo:[0,1] neg_hi:[0,1]
	v_pk_add_f16 v64, v30, v64
	v_pk_fma_f16 v30, v58, s30, v88 op_sel_hi:[0,1,1] neg_lo:[1,0,0] neg_hi:[1,0,0]
	v_pk_add_f16 v30, v43, v30 op_sel_hi:[0,1]
	v_pk_fma_f16 v65, v59, s34, v89 op_sel_hi:[0,1,1] neg_lo:[1,0,0] neg_hi:[1,0,0]
	v_pk_add_f16 v30, v30, v65
	v_pk_fma_f16 v65, v60, s36, v90 op_sel_hi:[0,1,1] neg_lo:[1,0,0] neg_hi:[1,0,0]
	v_pk_add_f16 v30, v30, v65
	;; [unrolled: 2-line block ×5, first 2 shown]
	v_pk_fma_f16 v30, v58, s40, v82 op_sel_hi:[0,1,1] neg_lo:[1,0,0] neg_hi:[1,0,0]
	v_pk_add_f16 v30, v43, v30 op_sel_hi:[0,1]
	v_pk_fma_f16 v66, v59, s41, v83 op_sel_hi:[0,1,1] neg_lo:[1,0,0] neg_hi:[1,0,0]
	v_pk_add_f16 v30, v30, v66
	v_pk_fma_f16 v66, v60, s43, v84 op_sel_hi:[0,1,1] neg_lo:[1,0,0] neg_hi:[1,0,0]
	v_pk_add_f16 v30, v30, v66
	;; [unrolled: 2-line block ×5, first 2 shown]
	v_pk_fma_f16 v30, v58, s40, v82 op_sel_hi:[0,1,1]
	v_pk_add_f16 v30, v43, v30 op_sel_hi:[0,1]
	v_pk_fma_f16 v67, v59, s41, v83 op_sel_hi:[0,1,1]
	v_pk_add_f16 v30, v30, v67
	v_pk_fma_f16 v67, v60, s43, v84 op_sel_hi:[0,1,1]
	v_add_f16_e32 v81, v43, v37
	v_pk_add_f16 v30, v30, v67
	v_pk_fma_f16 v67, v61, s44, v85 op_sel_hi:[0,1,1]
	v_add_f16_e32 v81, v81, v36
	;; [unrolled: 3-line block ×4, first 2 shown]
	v_pk_add_f16 v30, v30, v67
	v_add_f16_e32 v81, v81, v32
	v_alignbit_b32 v67, v30, v30, 16
	v_pk_fma_f16 v30, v58, s30, v88 op_sel_hi:[0,1,1]
	v_add_f16_e32 v81, v81, v31
	v_pk_add_f16 v30, v43, v30 op_sel_hi:[0,1]
	v_pk_fma_f16 v43, v59, s34, v89 op_sel_hi:[0,1,1]
	v_add_f16_e32 v81, v81, v33
	v_pk_add_f16 v30, v30, v43
	v_pk_fma_f16 v43, v60, s36, v90 op_sel_hi:[0,1,1]
	v_add_f16_e32 v81, v38, v81
	v_pk_add_f16 v30, v30, v43
	;; [unrolled: 3-line block ×4, first 2 shown]
	v_pk_fma_f16 v43, v63, s42, v93 op_sel_hi:[0,1,1]
	v_add_f16_e32 v81, v41, v81
	v_add_f16_e32 v95, v95, v101
	v_pk_add_f16 v30, v30, v43
	v_add_f16_e32 v81, v42, v81
	v_alignbit_b32 v58, v30, v30, 16
	v_perm_b32 v59, v11, v95, s47
	ds_write_b16 v57, v81 offset:1014
	ds_write_b128 v57, v[64:67] offset:1016
	ds_write_b64 v57, v[58:59] offset:1032
.LBB0_14:
	s_or_b64 exec, exec, s[2:3]
	v_add_f16_e32 v30, v44, v45
	v_add_f16_e32 v30, v30, v46
	;; [unrolled: 1-line block ×11, first 2 shown]
	v_sub_f16_e32 v3, v3, v16
	v_add_f16_e32 v70, v56, v30
	v_add_f16_e32 v30, v56, v45
	v_sub_f16_e32 v5, v5, v15
	v_sub_f16_e32 v9, v9, v10
	v_pk_mul_f16 v10, v3, s16 op_sel_hi:[0,1]
	v_add_f16_e32 v16, v55, v46
	v_pk_fma_f16 v43, v30, s4, v10 op_sel_hi:[0,1,1]
	v_pk_mul_f16 v45, v5, s17 op_sel_hi:[0,1]
	v_sub_f16_e32 v6, v6, v14
	v_pk_add_f16 v43, v43, v44 op_sel_hi:[1,0]
	v_pk_fma_f16 v46, v16, s5, v45 op_sel_hi:[0,1,1]
	v_add_f16_e32 v15, v54, v47
	v_pk_add_f16 v43, v43, v46
	v_pk_mul_f16 v46, v6, s18 op_sel_hi:[0,1]
	v_sub_f16_e32 v7, v7, v13
	v_pk_fma_f16 v47, v15, s6, v46 op_sel_hi:[0,1,1]
	v_add_f16_e32 v14, v53, v48
	v_pk_add_f16 v43, v43, v47
	v_pk_mul_f16 v47, v7, s19 op_sel_hi:[0,1]
	v_sub_f16_e32 v8, v8, v12
	v_pk_fma_f16 v48, v14, s7, v47 op_sel_hi:[0,1,1]
	v_add_f16_e32 v13, v52, v49
	v_pk_add_f16 v43, v43, v48
	v_pk_mul_f16 v48, v8, s20 op_sel_hi:[0,1]
	v_pk_fma_f16 v49, v13, s10, v48 op_sel_hi:[0,1,1]
	v_add_f16_e32 v12, v51, v50
	v_pk_add_f16 v43, v43, v49
	v_pk_mul_f16 v49, v9, s21 op_sel_hi:[0,1]
	v_pk_fma_f16 v50, v12, s11, v49 op_sel_hi:[0,1,1]
	v_pk_fma_f16 v10, v30, s4, v10 op_sel_hi:[0,1,1] neg_lo:[0,0,1] neg_hi:[0,0,1]
	v_pk_add_f16 v67, v43, v50
	v_pk_add_f16 v10, v10, v44 op_sel_hi:[1,0]
	v_pk_fma_f16 v43, v16, s5, v45 op_sel_hi:[0,1,1] neg_lo:[0,0,1] neg_hi:[0,0,1]
	v_pk_add_f16 v10, v10, v43
	v_pk_fma_f16 v43, v15, s6, v46 op_sel_hi:[0,1,1] neg_lo:[0,0,1] neg_hi:[0,0,1]
	v_pk_add_f16 v10, v10, v43
	;; [unrolled: 2-line block ×5, first 2 shown]
	v_pk_mul_f16 v10, v3, s30 op_sel_hi:[0,1]
	v_pk_fma_f16 v43, v30, s22, v10 op_sel_hi:[0,1,1]
	v_pk_mul_f16 v45, v5, s34 op_sel_hi:[0,1]
	v_pk_add_f16 v43, v43, v44 op_sel_hi:[1,0]
	v_pk_fma_f16 v46, v16, s23, v45 op_sel_hi:[0,1,1]
	v_pk_add_f16 v43, v43, v46
	v_pk_mul_f16 v46, v6, s36 op_sel_hi:[0,1]
	v_pk_fma_f16 v47, v15, s24, v46 op_sel_hi:[0,1,1]
	v_pk_add_f16 v43, v43, v47
	v_pk_mul_f16 v47, v7, s38 op_sel_hi:[0,1]
	;; [unrolled: 3-line block ×4, first 2 shown]
	v_pk_fma_f16 v50, v12, s31, v49 op_sel_hi:[0,1,1]
	v_pk_fma_f16 v10, v30, s22, v10 op_sel_hi:[0,1,1] neg_lo:[0,0,1] neg_hi:[0,0,1]
	v_pk_add_f16 v68, v43, v50
	v_pk_add_f16 v10, v10, v44 op_sel_hi:[1,0]
	v_pk_fma_f16 v43, v16, s23, v45 op_sel_hi:[0,1,1] neg_lo:[0,0,1] neg_hi:[0,0,1]
	v_pk_add_f16 v10, v10, v43
	v_pk_fma_f16 v43, v15, s24, v46 op_sel_hi:[0,1,1] neg_lo:[0,0,1] neg_hi:[0,0,1]
	v_pk_add_f16 v10, v10, v43
	;; [unrolled: 2-line block ×4, first 2 shown]
	v_pk_fma_f16 v43, v12, s31, v49 op_sel_hi:[0,1,1] neg_lo:[0,0,1] neg_hi:[0,0,1]
	v_pk_mul_f16 v3, v3, s40 op_sel_hi:[0,1]
	v_pk_add_f16 v72, v10, v43
	v_pk_fma_f16 v10, v30, s26, v3 op_sel_hi:[0,1,1]
	v_pk_mul_f16 v5, v5, s41 op_sel_hi:[0,1]
	v_pk_fma_f16 v3, v30, s26, v3 op_sel_hi:[0,1,1] neg_lo:[0,0,1] neg_hi:[0,0,1]
	v_pk_fma_f16 v43, v16, s28, v5 op_sel_hi:[0,1,1]
	v_pk_mul_f16 v6, v6, s43 op_sel_hi:[0,1]
	v_pk_add_f16 v3, v3, v44 op_sel_hi:[1,0]
	v_pk_fma_f16 v5, v16, s28, v5 op_sel_hi:[0,1,1] neg_lo:[0,0,1] neg_hi:[0,0,1]
	v_pk_mul_f16 v7, v7, s44 op_sel_hi:[0,1]
	v_pk_add_f16 v3, v3, v5
	v_pk_fma_f16 v5, v15, s29, v6 op_sel_hi:[0,1,1] neg_lo:[0,0,1] neg_hi:[0,0,1]
	v_pk_mul_f16 v8, v8, s45 op_sel_hi:[0,1]
	v_pk_add_f16 v3, v3, v5
	;; [unrolled: 3-line block ×3, first 2 shown]
	v_pk_fma_f16 v5, v13, s35, v8 op_sel_hi:[0,1,1] neg_lo:[0,0,1] neg_hi:[0,0,1]
	v_sub_f16_e32 v66, v37, v42
	v_pk_add_f16 v10, v10, v44 op_sel_hi:[1,0]
	v_pk_add_f16 v3, v3, v5
	v_pk_fma_f16 v5, v12, s37, v9 op_sel_hi:[0,1,1] neg_lo:[0,0,1] neg_hi:[0,0,1]
	v_add_f16_e32 v65, v18, v29
	v_sub_f16_e32 v64, v36, v41
	v_pk_mul_f16 v45, v66, s16 op_sel_hi:[0,1]
	v_pk_add_f16 v10, v10, v43
	v_pk_fma_f16 v43, v15, s29, v6 op_sel_hi:[0,1,1]
	v_pk_add_f16 v73, v3, v5
	v_add_f16_e32 v63, v19, v24
	v_sub_f16_e32 v62, v35, v40
	v_pk_mul_f16 v41, v64, s17 op_sel_hi:[0,1]
	v_pk_fma_f16 v3, v65, s4, v45 op_sel_hi:[0,1,1] neg_lo:[0,0,1] neg_hi:[0,0,1]
	v_pk_add_f16 v10, v10, v43
	v_pk_fma_f16 v43, v14, s33, v7 op_sel_hi:[0,1,1]
	v_add_f16_e32 v61, v20, v25
	v_sub_f16_e32 v60, v34, v39
	v_pk_mul_f16 v34, v62, s18 op_sel_hi:[0,1]
	v_pk_add_f16 v3, v17, v3 op_sel_hi:[0,1]
	v_pk_fma_f16 v5, v63, s5, v41 op_sel_hi:[0,1,1] neg_lo:[0,0,1] neg_hi:[0,0,1]
	v_pk_add_f16 v10, v10, v43
	v_pk_fma_f16 v43, v13, s35, v8 op_sel_hi:[0,1,1]
	v_add_f16_e32 v59, v21, v26
	v_sub_f16_e32 v58, v32, v38
	v_pk_mul_f16 v8, v60, s19 op_sel_hi:[0,1]
	v_pk_add_f16 v3, v3, v5
	v_pk_fma_f16 v5, v61, s6, v34 op_sel_hi:[0,1,1] neg_lo:[0,0,1] neg_hi:[0,0,1]
	v_add_f16_e32 v56, v22, v27
	v_sub_f16_e32 v55, v31, v33
	v_pk_mul_f16 v7, v58, s20 op_sel_hi:[0,1]
	v_pk_add_f16 v3, v3, v5
	v_pk_fma_f16 v5, v59, s7, v8 op_sel_hi:[0,1,1] neg_lo:[0,0,1] neg_hi:[0,0,1]
	v_add_f16_e32 v54, v23, v28
	v_pk_mul_f16 v6, v55, s21 op_sel_hi:[0,1]
	v_pk_add_f16 v3, v3, v5
	v_pk_fma_f16 v5, v56, s10, v7 op_sel_hi:[0,1,1] neg_lo:[0,0,1] neg_hi:[0,0,1]
	v_pk_add_f16 v10, v10, v43
	v_pk_fma_f16 v43, v12, s37, v9 op_sel_hi:[0,1,1]
	v_pk_add_f16 v3, v3, v5
	v_pk_fma_f16 v5, v54, s11, v6 op_sel_hi:[0,1,1] neg_lo:[0,0,1] neg_hi:[0,0,1]
	v_lshlrev_b32_e32 v12, 1, v2
	v_lshlrev_b32_e32 v2, 1, v4
	v_pk_add_f16 v15, v3, v5
	v_add_u32_e32 v3, 0, v2
	v_pk_add_f16 v69, v10, v43
	v_add_u32_e32 v10, v3, v12
	s_waitcnt lgkmcnt(0)
	s_barrier
	v_add3_u32 v9, 0, v12, v2
	ds_read_u16 v46, v10 offset:468
	ds_read_u16 v40, v10 offset:546
	ds_read_u16 v30, v9
	ds_read_u16 v16, v10 offset:78
	ds_read_u16 v14, v10 offset:156
	;; [unrolled: 1-line block ×22, first 2 shown]
	s_waitcnt lgkmcnt(0)
	s_barrier
	ds_write_b16 v57, v70
	v_alignbit_b32 v70, v73, v73, 16
	v_add_u32_e32 v5, 39, v4
	ds_write_b128 v57, v[67:70] offset:2
	v_alignbit_b32 v67, v72, v72, 16
	v_alignbit_b32 v68, v71, v71, 16
	ds_write_b64 v57, v[67:68] offset:18
	s_and_saveexec_b64 s[2:3], s[0:1]
	s_cbranch_execz .LBB0_16
; %bb.15:
	s_mov_b32 s0, 0x5040100
	v_perm_b32 v67, v17, v17, s0
	v_add_f16_e32 v17, v17, v18
	v_add_f16_e32 v17, v17, v19
	v_add_f16_e32 v17, v17, v20
	v_add_f16_e32 v17, v17, v21
	v_add_f16_e32 v17, v17, v22
	v_add_f16_e32 v17, v17, v23
	v_add_f16_e32 v17, v17, v28
	v_add_f16_e32 v17, v27, v17
	v_add_f16_e32 v17, v26, v17
	v_add_f16_e32 v17, v25, v17
	v_pack_b32_f16 v57, v65, v65
	v_pk_mul_f16 v65, v65, s4 op_sel_hi:[0,1]
	v_add_f16_e32 v17, v24, v17
	v_pack_b32_f16 v68, v63, v63
	v_pk_mul_f16 v63, v63, s5 op_sel_hi:[0,1]
	v_add_f16_e32 v20, v29, v17
	v_pk_add_f16 v17, v65, v45
	v_pack_b32_f16 v69, v61, v61
	v_pk_mul_f16 v61, v61, s6 op_sel_hi:[0,1]
	v_pk_add_f16 v17, v67, v17
	v_pk_add_f16 v18, v63, v41
	v_pack_b32_f16 v70, v59, v59
	v_pk_mul_f16 v59, v59, s7 op_sel_hi:[0,1]
	v_pk_add_f16 v17, v17, v18
	v_pk_add_f16 v18, v61, v34
	v_pack_b32_f16 v71, v56, v56
	v_pk_mul_f16 v56, v56, s10 op_sel_hi:[0,1]
	v_pk_add_f16 v17, v17, v18
	v_pk_add_f16 v8, v59, v8
	v_pack_b32_f16 v72, v54, v54
	v_pk_mul_f16 v54, v54, s11 op_sel_hi:[0,1]
	v_pk_add_f16 v8, v17, v8
	v_pk_add_f16 v7, v56, v7
	v_pack_b32_f16 v66, v66, v66
	v_pk_add_f16 v7, v8, v7
	v_pk_add_f16 v6, v54, v6
	s_mov_b32 s1, 0xbb7bbbf1
	v_pack_b32_f16 v64, v64, v64
	v_pk_add_f16 v17, v7, v6
	s_mov_b32 s0, 0xb5ac2fb7
	v_pk_mul_f16 v6, v66, s1
	s_mov_b32 s4, 0x394eb3a8
	v_pack_b32_f16 v62, v62, v62
	v_pk_fma_f16 v7, v57, s0, v6
	s_mov_b32 s1, 0xb9fdbbc4
	v_pk_mul_f16 v8, v64, s4
	s_mov_b32 s5, 0x37703b7b
	v_pack_b32_f16 v60, v60, v60
	v_pk_add_f16 v7, v67, v7
	v_pk_fma_f16 v18, v68, s1, v8
	s_mov_b32 s4, 0x3b15b5ac
	v_pk_mul_f16 v19, v62, s5
	s_mov_b32 s6, 0xbbf13770
	v_pack_b32_f16 v58, v58, v58
	v_pk_add_f16 v7, v7, v18
	;; [unrolled: 6-line block ×3, first 2 shown]
	v_pk_fma_f16 v18, v70, s5, v21
	s_mov_b32 s6, 0xbbc4388b
	v_pk_mul_f16 v22, v58, s7
	s_mov_b32 s10, 0x3a95b94e
	v_pk_add_f16 v7, v7, v18
	v_pk_fma_f16 v18, v71, s6, v22
	s_mov_b32 s7, 0x388bb9fd
	v_pk_mul_f16 v23, v55, s10
	v_pk_add_f16 v7, v7, v18
	v_pk_fma_f16 v18, v72, s7, v23
	v_pk_fma_f16 v6, v57, s0, v6 neg_lo:[0,0,1] neg_hi:[0,0,1]
	v_pk_add_f16 v18, v7, v18
	v_pk_add_f16 v6, v67, v6
	v_pk_fma_f16 v7, v68, s1, v8 neg_lo:[0,0,1] neg_hi:[0,0,1]
	v_pk_add_f16 v6, v6, v7
	v_pk_fma_f16 v7, v69, s4, v19 neg_lo:[0,0,1] neg_hi:[0,0,1]
	;; [unrolled: 2-line block ×5, first 2 shown]
	s_mov_b32 s1, 0xb3a8b94e
	v_pk_add_f16 v6, v6, v7
	s_mov_b32 s0, 0xbbc4b9fd
	v_pk_mul_f16 v7, v66, s1
	s_mov_b32 s4, 0x37703bf1
	v_pk_fma_f16 v8, v57, s0, v7
	s_mov_b32 s1, 0x3b152fb7
	v_pk_mul_f16 v21, v64, s4
	s_mov_b32 s5, 0xb94eba95
	v_pk_add_f16 v8, v67, v8
	v_pk_fma_f16 v19, v68, s1, v21
	s_mov_b32 s4, 0xb9fd388b
	v_pk_mul_f16 v22, v62, s5
	s_mov_b32 s6, 0x3a9533a8
	v_pk_add_f16 v8, v8, v19
	;; [unrolled: 5-line block ×4, first 2 shown]
	v_pk_fma_f16 v19, v71, s6, v24
	s_mov_b32 s7, 0x2fb7b5ac
	v_pk_mul_f16 v25, v55, s10
	v_pk_add_f16 v8, v8, v19
	v_pk_fma_f16 v19, v72, s7, v25
	v_pk_fma_f16 v7, v57, s0, v7 neg_lo:[0,0,1] neg_hi:[0,0,1]
	v_pk_add_f16 v19, v8, v19
	v_pk_add_f16 v7, v67, v7
	v_pk_fma_f16 v8, v68, s1, v21 neg_lo:[0,0,1] neg_hi:[0,0,1]
	v_pk_add_f16 v7, v7, v8
	v_pk_fma_f16 v8, v69, s4, v22 neg_lo:[0,0,1] neg_hi:[0,0,1]
	;; [unrolled: 2-line block ×5, first 2 shown]
	v_pk_add_f16 v7, v7, v8
	v_mul_u32_u24_e32 v8, 26, v5
	v_add3_u32 v8, 0, v8, v12
	ds_write_b16 v8, v20
	v_alignbit_b32 v20, v7, v7, 16
	v_alignbit_b32 v6, v6, v6, 16
	v_alignbit_b32 v7, v15, v15, 16
	ds_write_b128 v8, v[17:20] offset:2
	ds_write_b64 v8, v[6:7] offset:18
.LBB0_16:
	s_or_b64 exec, exec, s[2:3]
	s_movk_i32 s0, 0x4f
	v_add_u32_e32 v7, 0x75, v4
	v_mul_lo_u16_sdwa v6, v4, s0 dst_sel:DWORD dst_unused:UNUSED_PAD src0_sel:BYTE_0 src1_sel:DWORD
	v_mul_lo_u16_sdwa v18, v7, s0 dst_sel:DWORD dst_unused:UNUSED_PAD src0_sel:BYTE_0 src1_sel:DWORD
	v_lshrrev_b16_e32 v17, 10, v6
	v_lshrrev_b16_e32 v98, 10, v18
	v_mul_lo_u16_e32 v6, 13, v17
	v_mul_lo_u16_e32 v18, 13, v98
	v_sub_u16_e32 v27, v4, v6
	v_mov_b32_e32 v28, 4
	v_sub_u16_e32 v99, v7, v18
	v_lshlrev_b32_sdwa v6, v28, v27 dst_sel:DWORD dst_unused:UNUSED_PAD src0_sel:DWORD src1_sel:BYTE_0
	v_lshlrev_b32_sdwa v18, v28, v99 dst_sel:DWORD dst_unused:UNUSED_PAD src0_sel:DWORD src1_sel:BYTE_0
	s_waitcnt lgkmcnt(0)
	s_barrier
	global_load_dwordx4 v[19:22], v6, s[8:9]
	global_load_dwordx4 v[87:90], v18, s[8:9]
	v_mul_lo_u16_sdwa v6, v5, s0 dst_sel:DWORD dst_unused:UNUSED_PAD src0_sel:BYTE_0 src1_sel:DWORD
	v_lshrrev_b16_e32 v29, 10, v6
	v_mul_lo_u16_e32 v6, 13, v29
	v_sub_u16_e32 v95, v5, v6
	v_lshlrev_b32_sdwa v6, v28, v95 dst_sel:DWORD dst_unused:UNUSED_PAD src0_sel:DWORD src1_sel:BYTE_0
	v_add_u32_e32 v8, 0x4e, v4
	global_load_dwordx4 v[23:26], v6, s[8:9]
	v_mul_lo_u16_sdwa v6, v8, s0 dst_sel:DWORD dst_unused:UNUSED_PAD src0_sel:BYTE_0 src1_sel:DWORD
	v_lshrrev_b16_e32 v96, 10, v6
	v_mul_lo_u16_e32 v6, 13, v96
	v_sub_u16_e32 v97, v8, v6
	v_lshlrev_b32_sdwa v6, v28, v97 dst_sel:DWORD dst_unused:UNUSED_PAD src0_sel:DWORD src1_sel:BYTE_0
	global_load_dwordx4 v[54:57], v6, s[8:9]
	v_add_u32_e32 v6, 0x9c, v4
	v_mul_lo_u16_sdwa v63, v6, s0 dst_sel:DWORD dst_unused:UNUSED_PAD src0_sel:BYTE_0 src1_sel:DWORD
	v_lshrrev_b16_e32 v100, 10, v63
	v_mul_lo_u16_e32 v63, 13, v100
	v_sub_u16_e32 v101, v6, v63
	v_lshlrev_b32_sdwa v28, v28, v101 dst_sel:DWORD dst_unused:UNUSED_PAD src0_sel:DWORD src1_sel:BYTE_0
	ds_read_u16 v58, v10 offset:468
	ds_read_u16 v59, v10 offset:546
	ds_read_u16 v45, v9
	ds_read_u16 v41, v10 offset:78
	ds_read_u16 v34, v10 offset:156
	;; [unrolled: 1-line block ×7, first 2 shown]
	global_load_dwordx4 v[91:94], v28, s[8:9]
	ds_read_u16 v63, v10 offset:1248
	ds_read_u16 v65, v10 offset:1326
	;; [unrolled: 1-line block ×15, first 2 shown]
	s_movk_i32 s5, 0x3b9c
	s_mov_b32 s7, 0xbb9c
	s_movk_i32 s4, 0x38b4
	s_mov_b32 s10, 0xb8b4
	s_movk_i32 s6, 0x34f2
	s_movk_i32 s0, 0x82
	s_waitcnt vmcnt(0) lgkmcnt(0)
	s_barrier
	v_mul_f16_sdwa v72, v68, v19 dst_sel:DWORD dst_unused:UNUSED_PAD src0_sel:DWORD src1_sel:WORD_1
	v_mul_f16_sdwa v73, v51, v19 dst_sel:DWORD dst_unused:UNUSED_PAD src0_sel:DWORD src1_sel:WORD_1
	;; [unrolled: 1-line block ×3, first 2 shown]
	v_fma_f16 v83, v51, v19, -v72
	v_fma_f16 v78, v68, v19, v73
	v_mul_f16_sdwa v80, v71, v22 dst_sel:DWORD dst_unused:UNUSED_PAD src0_sel:DWORD src1_sel:WORD_1
	v_fma_f16 v82, v71, v22, v82
	v_fma_f16 v86, v52, v22, -v80
	v_mul_f16_sdwa v19, v49, v25 dst_sel:DWORD dst_unused:UNUSED_PAD src0_sel:DWORD src1_sel:WORD_1
	v_fma_f16 v71, v63, v25, v19
	v_mul_f16_sdwa v19, v66, v26 dst_sel:DWORD dst_unused:UNUSED_PAD src0_sel:DWORD src1_sel:WORD_1
	v_fma_f16 v80, v47, v26, -v19
	v_mul_f16_sdwa v19, v47, v26 dst_sel:DWORD dst_unused:UNUSED_PAD src0_sel:DWORD src1_sel:WORD_1
	v_fma_f16 v73, v66, v26, v19
	v_mul_f16_sdwa v19, v59, v54 dst_sel:DWORD dst_unused:UNUSED_PAD src0_sel:DWORD src1_sel:WORD_1
	v_mul_f16_sdwa v109, v46, v23 dst_sel:DWORD dst_unused:UNUSED_PAD src0_sel:DWORD src1_sel:WORD_1
	v_fma_f16 v66, v40, v54, -v19
	v_mul_f16_sdwa v19, v40, v54 dst_sel:DWORD dst_unused:UNUSED_PAD src0_sel:DWORD src1_sel:WORD_1
	v_mul_f16_sdwa v77, v50, v21 dst_sel:DWORD dst_unused:UNUSED_PAD src0_sel:DWORD src1_sel:WORD_1
	;; [unrolled: 1-line block ×3, first 2 shown]
	v_fma_f16 v68, v58, v23, v109
	v_fma_f16 v58, v59, v54, v19
	v_mul_f16_sdwa v19, v62, v55 dst_sel:DWORD dst_unused:UNUSED_PAD src0_sel:DWORD src1_sel:WORD_1
	v_mul_f16_sdwa v76, v69, v21 dst_sel:DWORD dst_unused:UNUSED_PAD src0_sel:DWORD src1_sel:WORD_1
	v_fma_f16 v81, v69, v21, v77
	v_fma_f16 v69, v44, v55, -v19
	v_mul_f16_sdwa v19, v44, v55 dst_sel:DWORD dst_unused:UNUSED_PAD src0_sel:DWORD src1_sel:WORD_1
	v_fma_f16 v62, v62, v55, v19
	v_mul_f16_sdwa v19, v65, v56 dst_sel:DWORD dst_unused:UNUSED_PAD src0_sel:DWORD src1_sel:WORD_1
	v_fma_f16 v72, v43, v56, -v19
	v_mul_f16_sdwa v19, v43, v56 dst_sel:DWORD dst_unused:UNUSED_PAD src0_sel:DWORD src1_sel:WORD_1
	v_mul_f16_sdwa v74, v70, v20 dst_sel:DWORD dst_unused:UNUSED_PAD src0_sel:DWORD src1_sel:WORD_1
	;; [unrolled: 1-line block ×3, first 2 shown]
	v_fma_f16 v63, v65, v56, v19
	v_mul_f16_sdwa v19, v102, v57 dst_sel:DWORD dst_unused:UNUSED_PAD src0_sel:DWORD src1_sel:WORD_1
	v_fma_f16 v84, v53, v20, -v74
	v_fma_f16 v74, v42, v57, -v19
	v_mul_f16_sdwa v19, v42, v57 dst_sel:DWORD dst_unused:UNUSED_PAD src0_sel:DWORD src1_sel:WORD_1
	v_fma_f16 v65, v102, v57, v19
	v_mul_f16_sdwa v19, v60, v87 dst_sel:DWORD dst_unused:UNUSED_PAD src0_sel:DWORD src1_sel:WORD_1
	v_fma_f16 v59, v38, v87, -v19
	v_mul_f16_sdwa v19, v38, v87 dst_sel:DWORD dst_unused:UNUSED_PAD src0_sel:DWORD src1_sel:WORD_1
	v_mul_f16_sdwa v75, v53, v20 dst_sel:DWORD dst_unused:UNUSED_PAD src0_sel:DWORD src1_sel:WORD_1
	;; [unrolled: 1-line block ×3, first 2 shown]
	v_fma_f16 v51, v60, v87, v19
	v_mul_f16_sdwa v19, v64, v88 dst_sel:DWORD dst_unused:UNUSED_PAD src0_sel:DWORD src1_sel:WORD_1
	v_mul_f16_sdwa v110, v61, v24 dst_sel:DWORD dst_unused:UNUSED_PAD src0_sel:DWORD src1_sel:WORD_1
	v_fma_f16 v79, v70, v20, v75
	v_fma_f16 v70, v61, v24, v111
	v_fma_f16 v61, v37, v88, -v19
	v_mul_f16_sdwa v19, v37, v88 dst_sel:DWORD dst_unused:UNUSED_PAD src0_sel:DWORD src1_sel:WORD_1
	v_fma_f16 v54, v64, v88, v19
	v_mul_f16_sdwa v19, v67, v89 dst_sel:DWORD dst_unused:UNUSED_PAD src0_sel:DWORD src1_sel:WORD_1
	v_fma_f16 v64, v36, v89, -v19
	v_mul_f16_sdwa v19, v36, v89 dst_sel:DWORD dst_unused:UNUSED_PAD src0_sel:DWORD src1_sel:WORD_1
	v_fma_f16 v55, v67, v89, v19
	v_mul_f16_sdwa v19, v103, v90 dst_sel:DWORD dst_unused:UNUSED_PAD src0_sel:DWORD src1_sel:WORD_1
	;; [unrolled: 4-line block ×3, first 2 shown]
	v_fma_f16 v85, v50, v21, -v76
	v_fma_f16 v52, v39, v91, -v19
	v_mul_f16_sdwa v19, v39, v91 dst_sel:DWORD dst_unused:UNUSED_PAD src0_sel:DWORD src1_sel:WORD_1
	v_fma_f16 v43, v105, v91, v19
	v_mul_f16_sdwa v19, v104, v92 dst_sel:DWORD dst_unused:UNUSED_PAD src0_sel:DWORD src1_sel:WORD_1
	v_add_f16_e32 v20, v84, v85
	v_fma_f16 v53, v32, v92, -v19
	v_mul_f16_sdwa v19, v32, v92 dst_sel:DWORD dst_unused:UNUSED_PAD src0_sel:DWORD src1_sel:WORD_1
	v_fma_f16 v20, v20, -0.5, v30
	v_sub_f16_e32 v21, v78, v82
	v_fma_f16 v75, v46, v23, -v108
	v_fma_f16 v76, v48, v24, -v110
	;; [unrolled: 1-line block ×3, first 2 shown]
	v_fma_f16 v47, v104, v92, v19
	v_mul_f16_sdwa v19, v106, v93 dst_sel:DWORD dst_unused:UNUSED_PAD src0_sel:DWORD src1_sel:WORD_1
	v_fma_f16 v22, v21, s5, v20
	v_sub_f16_e32 v23, v79, v81
	v_sub_f16_e32 v24, v83, v84
	;; [unrolled: 1-line block ×3, first 2 shown]
	v_fma_f16 v20, v21, s7, v20
	v_fma_f16 v56, v33, v93, -v19
	v_mul_f16_sdwa v19, v33, v93 dst_sel:DWORD dst_unused:UNUSED_PAD src0_sel:DWORD src1_sel:WORD_1
	v_fma_f16 v22, v23, s4, v22
	v_add_f16_e32 v24, v24, v25
	v_fma_f16 v20, v23, s10, v20
	v_fma_f16 v49, v106, v93, v19
	v_mul_f16_sdwa v19, v107, v94 dst_sel:DWORD dst_unused:UNUSED_PAD src0_sel:DWORD src1_sel:WORD_1
	v_fma_f16 v22, v24, s6, v22
	v_fma_f16 v20, v24, s6, v20
	v_add_f16_e32 v24, v83, v86
	v_fma_f16 v60, v31, v94, -v19
	v_mul_f16_sdwa v19, v31, v94 dst_sel:DWORD dst_unused:UNUSED_PAD src0_sel:DWORD src1_sel:WORD_1
	v_fma_f16 v24, v24, -0.5, v30
	v_fma_f16 v50, v107, v94, v19
	v_add_f16_e32 v19, v30, v83
	v_fma_f16 v25, v23, s7, v24
	v_sub_f16_e32 v26, v84, v83
	v_sub_f16_e32 v30, v85, v86
	v_fma_f16 v23, v23, s5, v24
	v_fma_f16 v25, v21, s4, v25
	v_add_f16_e32 v26, v26, v30
	v_fma_f16 v21, v21, s10, v23
	v_add_f16_e32 v24, v76, v77
	v_fma_f16 v25, v26, s6, v25
	v_fma_f16 v21, v26, s6, v21
	v_fma_f16 v24, v24, -0.5, v16
	v_sub_f16_e32 v26, v68, v73
	v_fma_f16 v30, v26, s5, v24
	v_sub_f16_e32 v31, v70, v71
	v_sub_f16_e32 v32, v75, v76
	;; [unrolled: 1-line block ×3, first 2 shown]
	v_fma_f16 v24, v26, s7, v24
	v_fma_f16 v30, v31, s4, v30
	v_add_f16_e32 v32, v32, v33
	v_fma_f16 v24, v31, s10, v24
	v_fma_f16 v30, v32, s6, v30
	;; [unrolled: 1-line block ×3, first 2 shown]
	v_add_f16_e32 v32, v75, v80
	v_add_f16_e32 v23, v16, v75
	v_fma_f16 v16, v32, -0.5, v16
	v_fma_f16 v32, v31, s7, v16
	v_sub_f16_e32 v33, v76, v75
	v_sub_f16_e32 v35, v77, v80
	v_fma_f16 v16, v31, s5, v16
	v_add_f16_e32 v33, v33, v35
	v_fma_f16 v16, v26, s10, v16
	v_fma_f16 v32, v26, s4, v32
	v_fma_f16 v26, v33, s6, v16
	v_add_f16_e32 v16, v14, v66
	v_add_f16_e32 v16, v16, v69
	;; [unrolled: 1-line block ×5, first 2 shown]
	v_fma_f16 v32, v33, s6, v32
	v_fma_f16 v16, v16, -0.5, v14
	v_sub_f16_e32 v33, v58, v65
	v_fma_f16 v35, v33, s5, v16
	v_sub_f16_e32 v36, v62, v63
	v_sub_f16_e32 v37, v66, v69
	;; [unrolled: 1-line block ×3, first 2 shown]
	v_fma_f16 v16, v33, s7, v16
	v_fma_f16 v35, v36, s4, v35
	v_add_f16_e32 v37, v37, v38
	v_fma_f16 v16, v36, s10, v16
	v_fma_f16 v35, v37, s6, v35
	v_fma_f16 v37, v37, s6, v16
	v_add_f16_e32 v16, v66, v74
	v_fma_f16 v14, v16, -0.5, v14
	v_fma_f16 v16, v36, s7, v14
	v_sub_f16_e32 v38, v69, v66
	v_sub_f16_e32 v39, v72, v74
	v_fma_f16 v14, v36, s5, v14
	v_add_f16_e32 v38, v38, v39
	v_fma_f16 v14, v33, s10, v14
	v_fma_f16 v16, v33, s4, v16
	;; [unrolled: 1-line block ×3, first 2 shown]
	v_add_f16_e32 v14, v13, v59
	v_add_f16_e32 v14, v14, v61
	;; [unrolled: 1-line block ×5, first 2 shown]
	v_fma_f16 v39, v38, s6, v16
	v_fma_f16 v14, v14, -0.5, v13
	v_sub_f16_e32 v16, v51, v57
	v_fma_f16 v38, v16, s5, v14
	v_sub_f16_e32 v40, v54, v55
	v_sub_f16_e32 v42, v59, v61
	;; [unrolled: 1-line block ×3, first 2 shown]
	v_fma_f16 v14, v16, s7, v14
	v_fma_f16 v38, v40, s4, v38
	v_add_f16_e32 v42, v42, v44
	v_fma_f16 v14, v40, s10, v14
	v_fma_f16 v38, v42, s6, v38
	;; [unrolled: 1-line block ×3, first 2 shown]
	v_add_f16_e32 v14, v59, v67
	v_fma_f16 v13, v14, -0.5, v13
	v_fma_f16 v14, v40, s7, v13
	v_sub_f16_e32 v44, v61, v59
	v_sub_f16_e32 v46, v64, v67
	v_fma_f16 v13, v40, s5, v13
	v_add_f16_e32 v44, v44, v46
	v_fma_f16 v13, v16, s10, v13
	v_fma_f16 v40, v44, s6, v13
	v_add_f16_e32 v13, v3, v52
	v_add_f16_e32 v13, v13, v53
	v_fma_f16 v14, v16, s4, v14
	v_add_f16_e32 v13, v13, v56
	v_fma_f16 v46, v44, s6, v14
	v_add_f16_e32 v44, v13, v60
	v_add_f16_e32 v13, v53, v56
	v_fma_f16 v13, v13, -0.5, v3
	v_sub_f16_e32 v14, v43, v50
	v_fma_f16 v16, v14, s5, v13
	v_sub_f16_e32 v48, v47, v49
	v_sub_f16_e32 v87, v52, v53
	;; [unrolled: 1-line block ×3, first 2 shown]
	v_fma_f16 v13, v14, s7, v13
	v_fma_f16 v16, v48, s4, v16
	v_add_f16_e32 v87, v87, v88
	v_fma_f16 v13, v48, s10, v13
	v_fma_f16 v89, v87, s6, v16
	;; [unrolled: 1-line block ×3, first 2 shown]
	v_add_f16_e32 v13, v52, v60
	v_fma_f16 v3, v13, -0.5, v3
	v_fma_f16 v13, v48, s7, v3
	v_sub_f16_e32 v87, v53, v52
	v_sub_f16_e32 v88, v56, v60
	v_fma_f16 v3, v48, s5, v3
	v_add_f16_e32 v87, v87, v88
	v_fma_f16 v3, v14, s10, v3
	v_add_f16_e32 v19, v19, v84
	v_fma_f16 v13, v14, s4, v13
	v_fma_f16 v48, v87, s6, v3
	v_mad_u32_u24 v3, v17, s0, 0
	v_mov_b32_e32 v17, 1
	v_add_f16_e32 v19, v19, v85
	v_fma_f16 v90, v87, s6, v13
	v_lshlrev_b32_sdwa v13, v17, v27 dst_sel:DWORD dst_unused:UNUSED_PAD src0_sel:DWORD src1_sel:BYTE_0
	v_add_f16_e32 v19, v19, v86
	v_add3_u32 v3, v3, v13, v12
	v_mad_u32_u24 v13, v29, s0, 0
	v_lshlrev_b32_sdwa v14, v17, v95 dst_sel:DWORD dst_unused:UNUSED_PAD src0_sel:DWORD src1_sel:BYTE_0
	ds_write_b16 v3, v19
	ds_write_b16 v3, v22 offset:26
	ds_write_b16 v3, v25 offset:52
	;; [unrolled: 1-line block ×4, first 2 shown]
	v_add3_u32 v13, v13, v14, v12
	v_mad_u32_u24 v14, v96, s0, 0
	v_lshlrev_b32_sdwa v19, v17, v97 dst_sel:DWORD dst_unused:UNUSED_PAD src0_sel:DWORD src1_sel:BYTE_0
	v_add_f16_e32 v23, v23, v76
	v_add3_u32 v14, v14, v19, v12
	v_mad_u32_u24 v19, v98, s0, 0
	v_lshlrev_b32_sdwa v20, v17, v99 dst_sel:DWORD dst_unused:UNUSED_PAD src0_sel:DWORD src1_sel:BYTE_0
	v_add_f16_e32 v23, v23, v77
	;; [unrolled: 4-line block ×3, first 2 shown]
	v_add3_u32 v88, v19, v17, v12
	ds_write_b16 v13, v23
	ds_write_b16 v13, v30 offset:26
	ds_write_b16 v13, v32 offset:52
	ds_write_b16 v13, v26 offset:78
	ds_write_b16 v13, v24 offset:104
	ds_write_b16 v14, v31
	ds_write_b16 v14, v35 offset:26
	ds_write_b16 v14, v39 offset:52
	ds_write_b16 v14, v33 offset:78
	ds_write_b16 v14, v37 offset:104
	;; [unrolled: 5-line block ×4, first 2 shown]
	s_waitcnt lgkmcnt(0)
	s_barrier
	ds_read_u16 v25, v9
	ds_read_u16 v24, v10 offset:78
	ds_read_u16 v23, v10 offset:156
	;; [unrolled: 1-line block ×23, first 2 shown]
	v_cmp_gt_u32_e64 s[0:1], 13, v4
                                        ; implicit-def: $vgpr27
	s_and_saveexec_b64 s[2:3], s[0:1]
	s_cbranch_execz .LBB0_18
; %bb.17:
	ds_read_u16 v16, v10 offset:624
	ds_read_u16 v11, v10 offset:1274
	;; [unrolled: 1-line block ×3, first 2 shown]
.LBB0_18:
	s_or_b64 exec, exec, s[2:3]
	v_add_f16_e32 v90, v79, v81
	v_fma_f16 v90, v90, -0.5, v45
	v_sub_f16_e32 v83, v83, v86
	v_fma_f16 v86, v83, s7, v90
	v_sub_f16_e32 v84, v84, v85
	v_add_f16_e32 v89, v45, v78
	v_fma_f16 v85, v84, s10, v86
	v_sub_f16_e32 v86, v78, v79
	v_sub_f16_e32 v91, v82, v81
	v_fma_f16 v90, v83, s5, v90
	v_add_f16_e32 v89, v89, v79
	v_add_f16_e32 v86, v86, v91
	v_fma_f16 v90, v84, s4, v90
	v_add_f16_e32 v89, v89, v81
	v_fma_f16 v85, v86, s6, v85
	v_fma_f16 v86, v86, s6, v90
	v_add_f16_e32 v90, v78, v82
	v_sub_f16_e32 v78, v79, v78
	v_sub_f16_e32 v79, v81, v82
	v_add_f16_e32 v81, v70, v71
	v_fma_f16 v45, v90, -0.5, v45
	v_fma_f16 v81, v81, -0.5, v41
	v_sub_f16_e32 v75, v75, v80
	v_fma_f16 v90, v84, s5, v45
	v_fma_f16 v45, v84, s7, v45
	;; [unrolled: 1-line block ×3, first 2 shown]
	v_sub_f16_e32 v76, v76, v77
	v_add_f16_e32 v89, v89, v82
	v_fma_f16 v90, v83, s10, v90
	v_add_f16_e32 v78, v78, v79
	v_fma_f16 v45, v83, s4, v45
	v_fma_f16 v77, v76, s10, v80
	v_sub_f16_e32 v80, v68, v70
	v_sub_f16_e32 v82, v73, v71
	v_fma_f16 v81, v75, s5, v81
	v_fma_f16 v79, v78, s6, v90
	;; [unrolled: 1-line block ×3, first 2 shown]
	v_add_f16_e32 v78, v41, v68
	v_add_f16_e32 v80, v80, v82
	v_fma_f16 v81, v76, s4, v81
	v_add_f16_e32 v78, v78, v70
	v_fma_f16 v77, v80, s6, v77
	v_fma_f16 v80, v80, s6, v81
	v_add_f16_e32 v81, v68, v73
	v_add_f16_e32 v78, v78, v71
	v_fma_f16 v41, v81, -0.5, v41
	v_sub_f16_e32 v68, v70, v68
	v_sub_f16_e32 v70, v71, v73
	v_add_f16_e32 v71, v62, v63
	v_fma_f16 v81, v76, s5, v41
	v_fma_f16 v41, v76, s7, v41
	v_fma_f16 v71, v71, -0.5, v34
	v_sub_f16_e32 v66, v66, v74
	v_add_f16_e32 v78, v78, v73
	v_fma_f16 v81, v75, s10, v81
	v_add_f16_e32 v68, v68, v70
	v_fma_f16 v41, v75, s4, v41
	v_fma_f16 v73, v66, s7, v71
	v_sub_f16_e32 v69, v69, v72
	v_fma_f16 v70, v68, s6, v81
	v_fma_f16 v41, v68, s6, v41
	v_add_f16_e32 v68, v34, v58
	v_fma_f16 v72, v69, s10, v73
	v_sub_f16_e32 v73, v58, v62
	v_sub_f16_e32 v74, v65, v63
	v_fma_f16 v71, v66, s5, v71
	v_add_f16_e32 v68, v68, v62
	v_add_f16_e32 v73, v73, v74
	v_fma_f16 v71, v69, s4, v71
	v_add_f16_e32 v68, v68, v63
	v_fma_f16 v72, v73, s6, v72
	v_fma_f16 v71, v73, s6, v71
	v_add_f16_e32 v73, v58, v65
	v_sub_f16_e32 v58, v62, v58
	v_sub_f16_e32 v62, v63, v65
	v_add_f16_e32 v63, v54, v55
	v_fma_f16 v34, v73, -0.5, v34
	v_fma_f16 v63, v63, -0.5, v18
	v_sub_f16_e32 v59, v59, v67
	v_add_f16_e32 v68, v68, v65
	v_fma_f16 v73, v69, s5, v34
	v_fma_f16 v34, v69, s7, v34
	;; [unrolled: 1-line block ×3, first 2 shown]
	v_sub_f16_e32 v61, v61, v64
	v_fma_f16 v73, v66, s10, v73
	v_fma_f16 v34, v66, s4, v34
	v_fma_f16 v64, v61, s10, v65
	v_sub_f16_e32 v65, v51, v54
	v_sub_f16_e32 v66, v57, v55
	v_fma_f16 v63, v59, s5, v63
	v_add_f16_e32 v65, v65, v66
	v_fma_f16 v63, v61, s4, v63
	v_add_f16_e32 v58, v58, v62
	v_fma_f16 v64, v65, s6, v64
	v_fma_f16 v63, v65, s6, v63
	v_add_f16_e32 v65, v51, v57
	v_fma_f16 v62, v58, s6, v73
	v_fma_f16 v34, v58, s6, v34
	v_add_f16_e32 v58, v18, v51
	v_fma_f16 v18, v65, -0.5, v18
	v_add_f16_e32 v58, v58, v54
	v_fma_f16 v65, v61, s5, v18
	v_sub_f16_e32 v51, v54, v51
	v_sub_f16_e32 v54, v55, v57
	v_fma_f16 v18, v61, s7, v18
	v_fma_f16 v65, v59, s10, v65
	v_add_f16_e32 v51, v51, v54
	v_fma_f16 v18, v59, s4, v18
	v_fma_f16 v54, v51, s6, v65
	;; [unrolled: 1-line block ×3, first 2 shown]
	v_add_f16_e32 v18, v28, v43
	v_add_f16_e32 v18, v18, v47
	;; [unrolled: 1-line block ×6, first 2 shown]
	v_fma_f16 v18, v18, -0.5, v28
	v_sub_f16_e32 v52, v52, v60
	v_add_f16_e32 v58, v58, v57
	v_fma_f16 v57, v52, s7, v18
	v_sub_f16_e32 v53, v53, v56
	v_fma_f16 v56, v53, s10, v57
	v_sub_f16_e32 v57, v43, v47
	v_sub_f16_e32 v59, v50, v49
	v_fma_f16 v18, v52, s5, v18
	v_add_f16_e32 v57, v57, v59
	v_fma_f16 v18, v53, s4, v18
	v_fma_f16 v56, v57, s6, v56
	;; [unrolled: 1-line block ×3, first 2 shown]
	v_add_f16_e32 v57, v43, v50
	v_fma_f16 v28, v57, -0.5, v28
	v_fma_f16 v57, v53, s5, v28
	v_sub_f16_e32 v43, v47, v43
	v_sub_f16_e32 v47, v49, v50
	v_fma_f16 v28, v53, s7, v28
	v_fma_f16 v57, v52, s10, v57
	v_add_f16_e32 v43, v43, v47
	v_fma_f16 v28, v52, s4, v28
	v_fma_f16 v47, v43, s6, v57
	v_fma_f16 v28, v43, s6, v28
	s_waitcnt lgkmcnt(0)
	s_barrier
	ds_write_b16 v3, v89
	ds_write_b16 v3, v85 offset:26
	ds_write_b16 v3, v79 offset:52
	ds_write_b16 v3, v45 offset:78
	ds_write_b16 v3, v86 offset:104
	ds_write_b16 v13, v78
	ds_write_b16 v13, v77 offset:26
	ds_write_b16 v13, v70 offset:52
	ds_write_b16 v13, v41 offset:78
	ds_write_b16 v13, v80 offset:104
	;; [unrolled: 5-line block ×5, first 2 shown]
	s_waitcnt lgkmcnt(0)
	s_barrier
	ds_read_u16 v50, v9
	ds_read_u16 v49, v10 offset:78
	ds_read_u16 v47, v10 offset:156
	;; [unrolled: 1-line block ×23, first 2 shown]
                                        ; implicit-def: $vgpr52
	s_and_saveexec_b64 s[2:3], s[0:1]
	s_cbranch_execz .LBB0_20
; %bb.19:
	ds_read_u16 v18, v10 offset:624
	ds_read_u16 v15, v10 offset:1274
	;; [unrolled: 1-line block ×3, first 2 shown]
.LBB0_20:
	s_or_b64 exec, exec, s[2:3]
	v_mov_b32_e32 v3, 0
	v_lshlrev_b64 v[13:14], 2, v[2:3]
	v_mov_b32_e32 v73, s9
	v_add_co_u32_e64 v13, s[2:3], s8, v13
	v_addc_co_u32_e64 v14, s[2:3], v73, v14, s[2:3]
	global_load_dwordx2 v[68:69], v[13:14], off offset:208
	v_subrev_u32_e32 v13, 26, v4
	v_cmp_gt_u32_e64 s[2:3], 26, v4
	v_cndmask_b32_e64 v13, v13, v5, s[2:3]
	v_lshlrev_b32_e32 v70, 1, v13
	v_mov_b32_e32 v71, v3
	v_lshlrev_b64 v[13:14], 2, v[70:71]
	v_add_u32_e32 v2, 26, v2
	v_add_co_u32_e64 v13, s[2:3], s8, v13
	v_lshlrev_b64 v[2:3], 2, v[2:3]
	v_addc_co_u32_e64 v14, s[2:3], v73, v14, s[2:3]
	v_add_co_u32_e64 v2, s[2:3], s8, v2
	v_addc_co_u32_e64 v3, s[2:3], v73, v3, s[2:3]
	s_movk_i32 s2, 0xfd
	global_load_dwordx2 v[71:72], v[13:14], off offset:208
	v_add_u32_e32 v81, 0x111, v4
	global_load_dwordx2 v[2:3], v[2:3], off offset:208
	v_mul_lo_u16_sdwa v13, v7, s2 dst_sel:DWORD dst_unused:UNUSED_PAD src0_sel:BYTE_0 src1_sel:DWORD
	v_lshrrev_b16_e32 v85, 14, v13
	v_mul_lo_u16_e32 v13, 0x41, v85
	v_sub_u16_e32 v86, v7, v13
	v_mov_b32_e32 v13, 3
	v_lshlrev_b32_sdwa v14, v13, v86 dst_sel:DWORD dst_unused:UNUSED_PAD src0_sel:DWORD src1_sel:BYTE_0
	global_load_dwordx2 v[73:74], v14, s[8:9] offset:208
	v_mul_lo_u16_sdwa v14, v6, s2 dst_sel:DWORD dst_unused:UNUSED_PAD src0_sel:BYTE_0 src1_sel:DWORD
	v_lshrrev_b16_e32 v14, 14, v14
	v_mul_lo_u16_e32 v14, 0x41, v14
	v_sub_u16_e32 v87, v6, v14
	v_lshlrev_b32_sdwa v14, v13, v87 dst_sel:DWORD dst_unused:UNUSED_PAD src0_sel:DWORD src1_sel:BYTE_0
	global_load_dwordx2 v[75:76], v14, s[8:9] offset:208
	v_add_u32_e32 v14, 0xc3, v4
	v_mul_lo_u16_sdwa v77, v14, s2 dst_sel:DWORD dst_unused:UNUSED_PAD src0_sel:BYTE_0 src1_sel:DWORD
	s_movk_i32 s2, 0xfc1
	v_mul_u32_u24_sdwa v82, v81, s2 dst_sel:DWORD dst_unused:UNUSED_PAD src0_sel:WORD_0 src1_sel:DWORD
	v_lshrrev_b16_e32 v77, 14, v77
	v_lshrrev_b32_e32 v82, 18, v82
	v_mul_lo_u16_e32 v77, 0x41, v77
	v_mul_lo_u16_e32 v82, 0x41, v82
	v_sub_u16_e32 v88, v14, v77
	v_sub_u16_e32 v91, v81, v82
	v_lshlrev_b32_sdwa v13, v13, v88 dst_sel:DWORD dst_unused:UNUSED_PAD src0_sel:DWORD src1_sel:BYTE_0
	v_lshlrev_b32_e32 v81, 3, v91
	global_load_dwordx2 v[77:78], v13, s[8:9] offset:208
	v_add_u32_e32 v83, 0x138, v4
	global_load_dwordx2 v[81:82], v81, s[8:9] offset:208
	v_add_u32_e32 v13, 0xea, v4
	v_mul_u32_u24_sdwa v79, v13, s2 dst_sel:DWORD dst_unused:UNUSED_PAD src0_sel:WORD_0 src1_sel:DWORD
	v_lshrrev_b32_e32 v89, 18, v79
	v_mul_lo_u16_e32 v79, 0x41, v89
	v_sub_u16_e32 v90, v13, v79
	v_lshlrev_b32_e32 v79, 3, v90
	global_load_dwordx2 v[79:80], v79, s[8:9] offset:208
	v_mul_u32_u24_sdwa v84, v83, s2 dst_sel:DWORD dst_unused:UNUSED_PAD src0_sel:WORD_0 src1_sel:DWORD
	v_lshrrev_b32_e32 v84, 18, v84
	v_mul_lo_u16_e32 v84, 0x41, v84
	v_sub_u16_e32 v92, v83, v84
	v_lshlrev_b32_e32 v83, 3, v92
	global_load_dwordx2 v[83:84], v83, s[8:9] offset:208
	s_movk_i32 s4, 0x3aee
	s_mov_b32 s5, 0xbaee
	s_waitcnt vmcnt(0) lgkmcnt(0)
	s_barrier
	v_cmp_lt_u32_e64 s[2:3], 25, v4
	s_movk_i32 s6, 0x186
	v_mul_f16_sdwa v93, v65, v68 dst_sel:DWORD dst_unused:UNUSED_PAD src0_sel:DWORD src1_sel:WORD_1
	v_mul_f16_sdwa v94, v46, v68 dst_sel:DWORD dst_unused:UNUSED_PAD src0_sel:DWORD src1_sel:WORD_1
	;; [unrolled: 1-line block ×4, first 2 shown]
	v_fma_f16 v46, v46, v68, -v93
	v_fma_f16 v65, v65, v68, v94
	v_fma_f16 v48, v48, v69, -v95
	v_fma_f16 v68, v66, v69, v96
	v_mul_f16_sdwa v69, v40, v71 dst_sel:DWORD dst_unused:UNUSED_PAD src0_sel:DWORD src1_sel:WORD_1
	v_mul_f16_sdwa v93, v67, v72 dst_sel:DWORD dst_unused:UNUSED_PAD src0_sel:DWORD src1_sel:WORD_1
	;; [unrolled: 1-line block ×6, first 2 shown]
	v_fma_f16 v69, v63, v71, v69
	v_fma_f16 v63, v44, v72, -v93
	v_fma_f16 v39, v39, v2, -v95
	v_fma_f16 v44, v62, v2, v96
	v_mul_f16_sdwa v2, v64, v3 dst_sel:DWORD dst_unused:UNUSED_PAD src0_sel:DWORD src1_sel:WORD_1
	v_fma_f16 v62, v42, v3, -v2
	v_mul_f16_sdwa v2, v42, v3 dst_sel:DWORD dst_unused:UNUSED_PAD src0_sel:DWORD src1_sel:WORD_1
	v_fma_f16 v64, v64, v3, v2
	v_mul_f16_sdwa v3, v60, v73 dst_sel:DWORD dst_unused:UNUSED_PAD src0_sel:DWORD src1_sel:WORD_1
	v_fma_f16 v66, v40, v71, -v66
	v_fma_f16 v40, v37, v73, -v3
	v_mul_f16_sdwa v3, v37, v73 dst_sel:DWORD dst_unused:UNUSED_PAD src0_sel:DWORD src1_sel:WORD_1
	v_fma_f16 v42, v60, v73, v3
	v_mul_f16_sdwa v3, v61, v74 dst_sel:DWORD dst_unused:UNUSED_PAD src0_sel:DWORD src1_sel:WORD_1
	v_fma_f16 v60, v38, v74, -v3
	v_mul_f16_sdwa v3, v38, v74 dst_sel:DWORD dst_unused:UNUSED_PAD src0_sel:DWORD src1_sel:WORD_1
	v_mov_b32_e32 v2, 1
	v_fma_f16 v61, v61, v74, v3
	v_mul_f16_sdwa v3, v58, v75 dst_sel:DWORD dst_unused:UNUSED_PAD src0_sel:DWORD src1_sel:WORD_1
	v_fma_f16 v67, v67, v72, v94
	v_lshlrev_b32_sdwa v71, v2, v86 dst_sel:DWORD dst_unused:UNUSED_PAD src0_sel:DWORD src1_sel:BYTE_0
	v_lshlrev_b32_sdwa v72, v2, v87 dst_sel:DWORD dst_unused:UNUSED_PAD src0_sel:DWORD src1_sel:BYTE_0
	v_fma_f16 v37, v35, v75, -v3
	v_mul_f16_sdwa v3, v35, v75 dst_sel:DWORD dst_unused:UNUSED_PAD src0_sel:DWORD src1_sel:WORD_1
	v_lshlrev_b32_sdwa v73, v2, v88 dst_sel:DWORD dst_unused:UNUSED_PAD src0_sel:DWORD src1_sel:BYTE_0
	v_mul_f16_sdwa v2, v56, v77 dst_sel:DWORD dst_unused:UNUSED_PAD src0_sel:DWORD src1_sel:WORD_1
	v_fma_f16 v38, v58, v75, v3
	v_mul_f16_sdwa v3, v59, v76 dst_sel:DWORD dst_unused:UNUSED_PAD src0_sel:DWORD src1_sel:WORD_1
	v_fma_f16 v35, v32, v77, -v2
	v_mul_f16_sdwa v2, v32, v77 dst_sel:DWORD dst_unused:UNUSED_PAD src0_sel:DWORD src1_sel:WORD_1
	v_fma_f16 v58, v36, v76, -v3
	v_mul_f16_sdwa v3, v36, v76 dst_sel:DWORD dst_unused:UNUSED_PAD src0_sel:DWORD src1_sel:WORD_1
	v_fma_f16 v36, v56, v77, v2
	v_mul_f16_sdwa v2, v57, v78 dst_sel:DWORD dst_unused:UNUSED_PAD src0_sel:DWORD src1_sel:WORD_1
	v_fma_f16 v56, v33, v78, -v2
	v_mul_f16_sdwa v2, v33, v78 dst_sel:DWORD dst_unused:UNUSED_PAD src0_sel:DWORD src1_sel:WORD_1
	v_fma_f16 v57, v57, v78, v2
	;; [unrolled: 4-line block ×6, first 2 shown]
	v_mul_f16_sdwa v2, v15, v83 dst_sel:DWORD dst_unused:UNUSED_PAD src0_sel:DWORD src1_sel:WORD_1
	v_fma_f16 v59, v59, v76, v3
	v_fma_f16 v2, v11, v83, -v2
	v_mul_f16_sdwa v3, v11, v83 dst_sel:DWORD dst_unused:UNUSED_PAD src0_sel:DWORD src1_sel:WORD_1
	v_mul_f16_sdwa v11, v52, v84 dst_sel:DWORD dst_unused:UNUSED_PAD src0_sel:DWORD src1_sel:WORD_1
	v_fma_f16 v3, v15, v83, v3
	v_fma_f16 v26, v27, v84, -v11
	v_mul_f16_sdwa v11, v27, v84 dst_sel:DWORD dst_unused:UNUSED_PAD src0_sel:DWORD src1_sel:WORD_1
	v_add_f16_e32 v15, v46, v48
	v_fma_f16 v27, v52, v84, v11
	v_add_f16_e32 v11, v25, v46
	v_fma_f16 v15, v15, -0.5, v25
	v_sub_f16_e32 v25, v65, v68
	v_add_f16_e32 v53, v66, v63
	v_fma_f16 v52, v25, s4, v15
	v_fma_f16 v15, v25, s5, v15
	v_add_f16_e32 v25, v24, v66
	v_fma_f16 v24, v53, -0.5, v24
	v_sub_f16_e32 v53, v69, v67
	v_fma_f16 v76, v53, s4, v24
	v_fma_f16 v24, v53, s5, v24
	v_add_f16_e32 v53, v23, v39
	v_add_f16_e32 v77, v53, v62
	v_add_f16_e32 v53, v39, v62
	v_fma_f16 v23, v53, -0.5, v23
	v_sub_f16_e32 v53, v44, v64
	v_fma_f16 v78, v53, s4, v23
	v_fma_f16 v23, v53, s5, v23
	v_add_f16_e32 v53, v22, v40
	v_add_f16_e32 v79, v53, v60
	;; [unrolled: 7-line block ×4, first 2 shown]
	v_add_f16_e32 v53, v35, v56
	v_fma_f16 v20, v53, -0.5, v20
	v_sub_f16_e32 v53, v36, v57
	v_add_f16_e32 v11, v11, v48
	v_fma_f16 v84, v53, s4, v20
	v_fma_f16 v20, v53, s5, v20
	v_add_f16_e32 v53, v19, v32
	v_add_f16_e32 v86, v53, v54
	v_add_f16_e32 v53, v32, v54
	ds_write_b16 v10, v11
	ds_write_b16 v10, v52 offset:130
	ds_write_b16 v10, v15 offset:260
	v_mov_b32_e32 v11, 0x186
	v_fma_f16 v19, v53, -0.5, v19
	v_sub_f16_e32 v53, v33, v55
	v_cndmask_b32_e64 v11, 0, v11, s[2:3]
	v_fma_f16 v87, v53, s4, v19
	v_fma_f16 v19, v53, s5, v19
	v_add_f16_e32 v53, v17, v30
	v_add_u32_e32 v11, 0, v11
	v_add_f16_e32 v88, v53, v51
	v_add_f16_e32 v53, v30, v51
	v_add3_u32 v52, v11, v70, v12
	v_mad_u32_u24 v11, v85, s6, 0
	v_lshlrev_b32_e32 v74, 1, v90
	v_lshlrev_b32_e32 v75, 1, v91
	v_add_f16_e32 v25, v25, v63
	v_fma_f16 v17, v53, -0.5, v17
	v_sub_f16_e32 v53, v31, v29
	v_add3_u32 v70, v11, v71, v12
	v_mad_u32_u24 v11, v89, s6, 0
	v_fma_f16 v90, v53, s4, v17
	v_fma_f16 v17, v53, s5, v17
	ds_write_b16 v52, v25
	ds_write_b16 v52, v76 offset:130
	ds_write_b16 v52, v24 offset:260
	v_add_u32_e32 v53, 26, v10
	v_add3_u32 v71, 0, v72, v12
	v_add3_u32 v72, 0, v73, v12
	;; [unrolled: 1-line block ×4, first 2 shown]
	v_lshlrev_b32_e32 v25, 1, v92
	ds_write_b16 v10, v77 offset:416
	ds_write_b16 v10, v78 offset:546
	;; [unrolled: 1-line block ×3, first 2 shown]
	ds_write_b16 v70, v79
	ds_write_b16 v70, v80 offset:130
	ds_write_b16 v70, v22 offset:260
	;; [unrolled: 1-line block ×8, first 2 shown]
	ds_write_b16 v73, v86
	ds_write_b16 v73, v87 offset:130
	ds_write_b16 v73, v19 offset:260
	;; [unrolled: 1-line block ×5, first 2 shown]
	s_and_saveexec_b64 s[2:3], s[0:1]
	s_cbranch_execz .LBB0_22
; %bb.21:
	v_add_f16_e32 v15, v2, v26
	v_fma_f16 v15, v15, -0.5, v16
	v_add_f16_e32 v16, v16, v2
	v_add3_u32 v11, 0, v25, v12
	v_sub_f16_e32 v17, v3, v27
	v_add_f16_e32 v16, v16, v26
	v_fma_f16 v19, v17, s5, v15
	v_fma_f16 v15, v17, s4, v15
	ds_write_b16 v11, v16 offset:1560
	ds_write_b16 v11, v15 offset:1690
	;; [unrolled: 1-line block ×3, first 2 shown]
.LBB0_22:
	s_or_b64 exec, exec, s[2:3]
	v_add_f16_e32 v11, v50, v65
	v_add_f16_e32 v75, v11, v68
	v_add_f16_e32 v11, v65, v68
	v_fma_f16 v11, v11, -0.5, v50
	v_sub_f16_e32 v15, v46, v48
	v_fma_f16 v46, v15, s5, v11
	v_fma_f16 v48, v15, s4, v11
	v_add_f16_e32 v11, v49, v69
	v_add_f16_e32 v50, v11, v67
	v_add_f16_e32 v11, v69, v67
	v_fma_f16 v11, v11, -0.5, v49
	v_sub_f16_e32 v15, v66, v63
	v_fma_f16 v49, v15, s5, v11
	v_fma_f16 v63, v15, s4, v11
	;; [unrolled: 7-line block ×8, first 2 shown]
	s_waitcnt lgkmcnt(0)
	s_barrier
	ds_read_u16 v28, v10 offset:468
	ds_read_u16 v36, v10 offset:546
	ds_read_u16 v11, v9
	ds_read_u16 v22, v10 offset:78
	ds_read_u16 v33, v10 offset:156
	ds_read_u16 v42, v10 offset:234
	ds_read_u16 v34, v10 offset:624
	ds_read_u16 v29, v10 offset:858
	ds_read_u16 v38, v10 offset:936
	ds_read_u16 v40, v10 offset:1014
	ds_read_u16 v30, v10 offset:1248
	ds_read_u16 v39, v10 offset:1326
	ds_read_u16 v41, v10 offset:1404
	ds_read_u16 v31, v10 offset:1638
	ds_read_u16 v37, v10 offset:1716
	ds_read_u16 v35, v10 offset:1794
	ds_read_u16 v17, v10 offset:390
	ds_read_u16 v32, v10 offset:312
	ds_read_u16 v19, v10 offset:1170
	ds_read_u16 v15, v10 offset:1092
	ds_read_u16 v21, v10 offset:780
	ds_read_u16 v23, v10 offset:702
	ds_read_u16 v20, v10 offset:1560
	ds_read_u16 v16, v10 offset:1482
	ds_read_u16 v24, v10 offset:1872
	s_waitcnt lgkmcnt(0)
	s_barrier
	ds_write_b16 v10, v75
	ds_write_b16 v10, v46 offset:130
	ds_write_b16 v10, v48 offset:260
	ds_write_b16 v52, v50
	ds_write_b16 v52, v49 offset:130
	ds_write_b16 v52, v63 offset:260
	;; [unrolled: 1-line block ×5, first 2 shown]
	ds_write_b16 v70, v62
	ds_write_b16 v70, v45 offset:130
	ds_write_b16 v70, v60 offset:260
	;; [unrolled: 1-line block ×8, first 2 shown]
	ds_write_b16 v73, v64
	ds_write_b16 v73, v54 offset:130
	ds_write_b16 v73, v55 offset:260
	;; [unrolled: 1-line block ×5, first 2 shown]
	s_and_saveexec_b64 s[2:3], s[0:1]
	s_cbranch_execz .LBB0_24
; %bb.23:
	v_add_f16_e32 v43, v18, v3
	v_add_f16_e32 v3, v3, v27
	v_fma_f16 v3, v3, -0.5, v18
	v_sub_f16_e32 v2, v2, v26
	s_mov_b32 s0, 0xbaee
	v_fma_f16 v18, v2, s0, v3
	s_movk_i32 s0, 0x3aee
	v_add_f16_e32 v43, v43, v27
	v_fma_f16 v2, v2, s0, v3
	v_add3_u32 v3, 0, v25, v12
	ds_write_b16 v3, v43 offset:1560
	ds_write_b16 v3, v18 offset:1690
	;; [unrolled: 1-line block ×3, first 2 shown]
.LBB0_24:
	s_or_b64 exec, exec, s[2:3]
	s_waitcnt lgkmcnt(0)
	s_barrier
	s_and_saveexec_b64 s[0:1], vcc
	s_cbranch_execz .LBB0_26
; %bb.25:
	v_lshlrev_b32_e32 v2, 2, v6
	v_mov_b32_e32 v3, 0
	v_lshlrev_b64 v[25:26], 2, v[2:3]
	v_mov_b32_e32 v43, s9
	v_add_co_u32_e32 v25, vcc, s8, v25
	v_addc_co_u32_e32 v26, vcc, v43, v26, vcc
	global_load_dwordx4 v[44:47], v[25:26], off offset:728
	v_lshlrev_b32_e32 v2, 2, v7
	v_lshlrev_b64 v[25:26], 2, v[2:3]
	ds_read_u16 v12, v10 offset:1872
	v_add_co_u32_e32 v25, vcc, s8, v25
	v_addc_co_u32_e32 v26, vcc, v43, v26, vcc
	ds_read_u16 v60, v10 offset:1170
	ds_read_u16 v18, v10 offset:1092
	;; [unrolled: 1-line block ×12, first 2 shown]
	global_load_dwordx4 v[48:51], v[25:26], off offset:728
	ds_read_u16 v2, v10 offset:1482
	ds_read_u16 v59, v10 offset:1404
	;; [unrolled: 1-line block ×7, first 2 shown]
	s_mov_b32 s2, 0xbb9c
	s_movk_i32 s3, 0x3b9c
	s_movk_i32 s0, 0x38b4
	s_mov_b32 s4, 0xb8b4
	s_movk_i32 s1, 0x34f2
	ds_read_u16 v75, v10 offset:156
	ds_read_u16 v9, v9
	s_waitcnt vmcnt(1)
	v_mul_f16_sdwa v26, v15, v45 dst_sel:DWORD dst_unused:UNUSED_PAD src0_sel:DWORD src1_sel:WORD_1
	v_mul_f16_sdwa v52, v23, v44 dst_sel:DWORD dst_unused:UNUSED_PAD src0_sel:DWORD src1_sel:WORD_1
	;; [unrolled: 1-line block ×4, first 2 shown]
	s_waitcnt lgkmcnt(14)
	v_mul_f16_sdwa v55, v27, v44 dst_sel:DWORD dst_unused:UNUSED_PAD src0_sel:DWORD src1_sel:WORD_1
	v_mul_f16_sdwa v71, v12, v47 dst_sel:DWORD dst_unused:UNUSED_PAD src0_sel:DWORD src1_sel:WORD_1
	;; [unrolled: 1-line block ×3, first 2 shown]
	s_waitcnt lgkmcnt(8)
	v_mul_f16_sdwa v73, v2, v46 dst_sel:DWORD dst_unused:UNUSED_PAD src0_sel:DWORD src1_sel:WORD_1
	v_fma_f16 v18, v18, v45, v26
	v_fma_f16 v27, v27, v44, v52
	;; [unrolled: 1-line block ×4, first 2 shown]
	v_fma_f16 v44, v23, v44, -v55
	v_fma_f16 v47, v24, v47, -v71
	;; [unrolled: 1-line block ×4, first 2 shown]
	v_sub_f16_e32 v12, v18, v27
	v_sub_f16_e32 v15, v2, v52
	v_add_f16_e32 v23, v27, v52
	v_add_f16_e32 v54, v18, v2
	s_waitcnt lgkmcnt(3)
	v_add_f16_e32 v55, v27, v25
	v_sub_f16_e32 v16, v44, v47
	v_sub_f16_e32 v24, v45, v46
	;; [unrolled: 1-line block ×4, first 2 shown]
	v_add_f16_e32 v73, v44, v47
	v_sub_f16_e32 v74, v18, v2
	v_add_f16_e32 v12, v12, v15
	v_fma_f16 v15, v23, -0.5, v25
	v_fma_f16 v23, v54, -0.5, v25
	v_add_f16_e32 v18, v18, v55
	v_add_f16_e32 v53, v26, v53
	v_fma_f16 v55, v73, -0.5, v32
	v_fma_f16 v25, v24, s2, v15
	v_fma_f16 v26, v16, s3, v23
	v_add_f16_e32 v2, v2, v18
	v_sub_f16_e32 v71, v45, v44
	v_sub_f16_e32 v72, v46, v47
	v_fma_f16 v15, v24, s3, v15
	v_fma_f16 v18, v16, s0, v25
	;; [unrolled: 1-line block ×3, first 2 shown]
	v_add_f16_e32 v26, v52, v2
	v_fma_f16 v2, v74, s3, v55
	v_sub_f16_e32 v27, v27, v52
	v_add_f16_e32 v54, v71, v72
	v_fma_f16 v23, v16, s2, v23
	v_fma_f16 v16, v16, s4, v15
	;; [unrolled: 1-line block ×12, first 2 shown]
	v_sub_f16_e32 v2, v44, v45
	v_sub_f16_e32 v18, v47, v46
	v_add_f16_e32 v2, v2, v18
	v_add_f16_e32 v18, v45, v46
	v_fma_f16 v52, v18, -0.5, v32
	v_fma_f16 v18, v27, s2, v52
	v_fma_f16 v27, v27, s3, v52
	;; [unrolled: 1-line block ×6, first 2 shown]
	v_add_f16_e32 v2, v32, v44
	v_add_f16_e32 v2, v45, v2
	;; [unrolled: 1-line block ×4, first 2 shown]
	s_waitcnt vmcnt(0)
	v_mul_f16_sdwa v2, v34, v48 dst_sel:DWORD dst_unused:UNUSED_PAD src0_sel:DWORD src1_sel:WORD_1
	v_fma_f16 v71, v57, v48, v2
	v_lshlrev_b32_e32 v2, 2, v8
	v_lshlrev_b64 v[44:45], 2, v[2:3]
	v_mul_f16_sdwa v2, v40, v49 dst_sel:DWORD dst_unused:UNUSED_PAD src0_sel:DWORD src1_sel:WORD_1
	v_add_co_u32_e32 v44, vcc, s8, v44
	v_addc_co_u32_e32 v45, vcc, v43, v45, vcc
	global_load_dwordx4 v[52:55], v[44:45], off offset:728
	v_mul_f16_sdwa v45, v35, v51 dst_sel:DWORD dst_unused:UNUSED_PAD src0_sel:DWORD src1_sel:WORD_1
	v_fma_f16 v72, v58, v51, v45
	v_mul_f16_sdwa v45, v41, v50 dst_sel:DWORD dst_unused:UNUSED_PAD src0_sel:DWORD src1_sel:WORD_1
	v_fma_f16 v2, v56, v49, v2
	v_fma_f16 v74, v59, v50, v45
	v_sub_f16_e32 v44, v71, v2
	v_sub_f16_e32 v45, v72, v74
	v_add_f16_e32 v46, v44, v45
	v_mul_f16_sdwa v44, v56, v49 dst_sel:DWORD dst_unused:UNUSED_PAD src0_sel:DWORD src1_sel:WORD_1
	v_fma_f16 v49, v40, v49, -v44
	v_mul_f16_sdwa v40, v59, v50 dst_sel:DWORD dst_unused:UNUSED_PAD src0_sel:DWORD src1_sel:WORD_1
	v_fma_f16 v50, v41, v50, -v40
	;; [unrolled: 2-line block ×4, first 2 shown]
	v_sub_f16_e32 v35, v56, v49
	v_sub_f16_e32 v40, v51, v50
	v_add_f16_e32 v58, v35, v40
	v_sub_f16_e32 v40, v2, v71
	v_sub_f16_e32 v41, v74, v72
	v_add_f16_e32 v44, v40, v41
	v_add_f16_e32 v40, v71, v72
	v_sub_f16_e32 v47, v49, v50
	v_add_f16_e32 v34, v2, v74
	s_waitcnt lgkmcnt(2)
	v_fma_f16 v45, v40, -0.5, v70
	v_sub_f16_e32 v48, v56, v51
	v_fma_f16 v57, v34, -0.5, v70
	v_fma_f16 v40, v47, s2, v45
	v_fma_f16 v45, v47, s3, v45
	;; [unrolled: 1-line block ×8, first 2 shown]
	v_add_f16_e32 v48, v71, v70
	v_sub_f16_e32 v77, v2, v74
	v_add_f16_e32 v2, v2, v48
	v_add_f16_e32 v2, v74, v2
	;; [unrolled: 1-line block ×4, first 2 shown]
	v_sub_f16_e32 v41, v49, v56
	v_sub_f16_e32 v78, v50, v51
	v_add_f16_e32 v2, v2, v49
	v_add_f16_e32 v35, v49, v50
	v_add_f16_e32 v78, v41, v78
	v_add_f16_e32 v41, v56, v51
	v_add_f16_e32 v2, v2, v50
	v_fma_f16 v59, v35, -0.5, v42
	v_fma_f16 v79, v41, -0.5, v42
	v_add_f16_e32 v42, v51, v2
	v_lshlrev_b32_e32 v2, 2, v5
	v_lshlrev_b64 v[49:50], 2, v[2:3]
	ds_read_u16 v73, v10 offset:1326
	v_sub_f16_e32 v76, v71, v72
	ds_read_u16 v71, v10 offset:1248
	v_fma_f16 v34, v46, s1, v34
	v_fma_f16 v35, v76, s2, v59
	;; [unrolled: 1-line block ×4, first 2 shown]
	v_add_co_u32_e32 v49, vcc, s8, v49
	v_fma_f16 v35, v77, s4, v35
	v_fma_f16 v47, v77, s0, v47
	v_addc_co_u32_e32 v50, vcc, v43, v50, vcc
	v_fma_f16 v35, v58, s1, v35
	v_fma_f16 v47, v58, s1, v47
	global_load_dwordx4 v[56:59], v[49:50], off offset:728
	v_fma_f16 v40, v44, s1, v40
	v_fma_f16 v41, v77, s3, v79
	;; [unrolled: 1-line block ×8, first 2 shown]
	ds_read_u16 v10, v10 offset:78
	s_waitcnt vmcnt(1)
	v_mul_f16_sdwa v49, v38, v53 dst_sel:DWORD dst_unused:UNUSED_PAD src0_sel:DWORD src1_sel:WORD_1
	v_fma_f16 v49, v61, v53, v49
	v_mul_f16_sdwa v61, v61, v53 dst_sel:DWORD dst_unused:UNUSED_PAD src0_sel:DWORD src1_sel:WORD_1
	v_mul_f16_sdwa v70, v39, v54 dst_sel:DWORD dst_unused:UNUSED_PAD src0_sel:DWORD src1_sel:WORD_1
	v_fma_f16 v53, v38, v53, -v61
	s_waitcnt lgkmcnt(2)
	v_mul_f16_sdwa v38, v73, v54 dst_sel:DWORD dst_unused:UNUSED_PAD src0_sel:DWORD src1_sel:WORD_1
	v_mul_f16_sdwa v2, v36, v52 dst_sel:DWORD dst_unused:UNUSED_PAD src0_sel:DWORD src1_sel:WORD_1
	;; [unrolled: 1-line block ×3, first 2 shown]
	v_fma_f16 v70, v73, v54, v70
	v_fma_f16 v54, v39, v54, -v38
	v_mul_f16_sdwa v39, v67, v52 dst_sel:DWORD dst_unused:UNUSED_PAD src0_sel:DWORD src1_sel:WORD_1
	v_fma_f16 v2, v67, v52, v2
	v_fma_f16 v51, v64, v55, v51
	v_fma_f16 v52, v36, v52, -v39
	v_mul_f16_sdwa v36, v64, v55 dst_sel:DWORD dst_unused:UNUSED_PAD src0_sel:DWORD src1_sel:WORD_1
	v_fma_f16 v55, v37, v55, -v36
	v_sub_f16_e32 v74, v49, v2
	v_sub_f16_e32 v76, v70, v51
	;; [unrolled: 1-line block ×4, first 2 shown]
	v_add_f16_e32 v74, v74, v76
	v_add_f16_e32 v76, v2, v51
	v_sub_f16_e32 v78, v53, v52
	v_sub_f16_e32 v79, v54, v55
	v_add_f16_e32 v2, v2, v75
	v_add_f16_e32 v78, v78, v79
	;; [unrolled: 1-line block ×4, first 2 shown]
	v_sub_f16_e32 v73, v49, v70
	v_fma_f16 v79, v79, -0.5, v33
	v_add_f16_e32 v2, v70, v2
	v_add_f16_e32 v37, v49, v70
	;; [unrolled: 1-line block ×3, first 2 shown]
	v_fma_f16 v2, v73, s2, v79
	v_sub_f16_e32 v36, v52, v55
	v_fma_f16 v37, v37, -0.5, v75
	v_fma_f16 v2, v67, s0, v2
	v_sub_f16_e32 v72, v51, v70
	v_sub_f16_e32 v38, v53, v54
	v_fma_f16 v39, v36, s3, v37
	v_fma_f16 v51, v78, s1, v2
	v_lshlrev_b32_e32 v2, 2, v4
	v_add_f16_e32 v50, v50, v72
	v_fma_f16 v39, v38, s0, v39
	v_fma_f16 v76, v76, -0.5, v75
	v_lshlrev_b64 v[2:3], 2, v[2:3]
	v_fma_f16 v61, v50, s1, v39
	v_sub_f16_e32 v39, v52, v53
	v_sub_f16_e32 v64, v55, v54
	v_fma_f16 v77, v38, s2, v76
	v_fma_f16 v76, v38, s3, v76
	v_add_f16_e32 v64, v39, v64
	v_add_f16_e32 v39, v53, v54
	v_fma_f16 v77, v36, s0, v77
	v_fma_f16 v76, v36, s4, v76
	;; [unrolled: 1-line block ×3, first 2 shown]
	v_add_co_u32_e32 v2, vcc, s8, v2
	v_fma_f16 v39, v39, -0.5, v33
	v_fma_f16 v80, v73, s3, v79
	v_fma_f16 v36, v38, s4, v36
	v_addc_co_u32_e32 v3, vcc, v43, v3, vcc
	v_fma_f16 v72, v67, s2, v39
	v_fma_f16 v80, v67, s4, v80
	;; [unrolled: 1-line block ×4, first 2 shown]
	global_load_dwordx4 v[36:39], v[2:3], off offset:728
	v_fma_f16 v2, v73, s0, v67
	v_fma_f16 v43, v64, s1, v2
	v_add_f16_e32 v2, v33, v52
	v_add_f16_e32 v2, v2, v53
	;; [unrolled: 1-line block ×4, first 2 shown]
	s_waitcnt vmcnt(1)
	v_mul_f16_sdwa v2, v28, v56 dst_sel:DWORD dst_unused:UNUSED_PAD src0_sel:DWORD src1_sel:WORD_1
	v_mul_f16_sdwa v3, v29, v57 dst_sel:DWORD dst_unused:UNUSED_PAD src0_sel:DWORD src1_sel:WORD_1
	;; [unrolled: 1-line block ×4, first 2 shown]
	v_fma_f16 v72, v73, s4, v72
	v_fma_f16 v2, v68, v56, v2
	;; [unrolled: 1-line block ×4, first 2 shown]
	s_waitcnt lgkmcnt(1)
	v_fma_f16 v54, v71, v58, v54
	v_mul_f16_sdwa v62, v62, v57 dst_sel:DWORD dst_unused:UNUSED_PAD src0_sel:DWORD src1_sel:WORD_1
	v_fma_f16 v72, v64, s1, v72
	v_sub_f16_e32 v52, v2, v3
	v_sub_f16_e32 v55, v53, v54
	v_mul_f16_sdwa v64, v68, v56 dst_sel:DWORD dst_unused:UNUSED_PAD src0_sel:DWORD src1_sel:WORD_1
	v_fma_f16 v29, v29, v57, -v62
	v_mul_f16_sdwa v57, v71, v58 dst_sel:DWORD dst_unused:UNUSED_PAD src0_sel:DWORD src1_sel:WORD_1
	s_waitcnt lgkmcnt(0)
	v_add_f16_e32 v68, v2, v10
	v_add_f16_e32 v52, v52, v55
	;; [unrolled: 1-line block ×3, first 2 shown]
	v_fma_f16 v28, v28, v56, -v64
	v_mul_f16_sdwa v56, v65, v59 dst_sel:DWORD dst_unused:UNUSED_PAD src0_sel:DWORD src1_sel:WORD_1
	v_fma_f16 v30, v30, v58, -v57
	v_sub_f16_e32 v64, v2, v53
	v_sub_f16_e32 v67, v3, v54
	v_add_f16_e32 v68, v3, v68
	v_sub_f16_e32 v3, v3, v2
	v_add_f16_e32 v2, v2, v53
	v_fma_f16 v31, v31, v59, -v56
	v_sub_f16_e32 v57, v29, v30
	v_fma_f16 v2, v2, -0.5, v10
	v_fma_f16 v55, v55, -0.5, v10
	v_sub_f16_e32 v56, v28, v31
	v_add_f16_e32 v68, v54, v68
	v_sub_f16_e32 v54, v54, v53
	v_fma_f16 v10, v57, s2, v2
	v_fma_f16 v2, v57, s3, v2
	v_add_f16_e32 v3, v3, v54
	v_fma_f16 v2, v56, s4, v2
	v_fma_f16 v59, v56, s2, v55
	;; [unrolled: 1-line block ×8, first 2 shown]
	v_add_f16_e32 v68, v53, v68
	v_fma_f16 v53, v3, s1, v10
	v_fma_f16 v52, v52, s1, v2
	v_sub_f16_e32 v2, v29, v28
	v_sub_f16_e32 v3, v30, v31
	v_add_f16_e32 v2, v2, v3
	v_add_f16_e32 v3, v28, v31
	v_sub_f16_e32 v59, v28, v29
	v_sub_f16_e32 v62, v31, v30
	v_fma_f16 v3, v3, -0.5, v22
	v_add_f16_e32 v59, v59, v62
	v_add_f16_e32 v62, v29, v30
	v_fma_f16 v10, v67, s3, v3
	v_fma_f16 v3, v67, s2, v3
	v_fma_f16 v62, v62, -0.5, v22
	v_add_f16_e32 v70, v22, v28
	v_fma_f16 v10, v64, s4, v10
	v_fma_f16 v3, v64, s0, v3
	v_add_f16_e32 v70, v70, v29
	v_fma_f16 v22, v2, s1, v10
	v_fma_f16 v28, v2, s1, v3
	;; [unrolled: 1-line block ×3, first 2 shown]
	v_add_f16_e32 v70, v70, v30
	v_fma_f16 v2, v67, s4, v2
	v_add_f16_e32 v70, v31, v70
	v_fma_f16 v29, v59, s1, v2
	v_fma_f16 v65, v64, s3, v62
	;; [unrolled: 1-line block ×3, first 2 shown]
	s_waitcnt vmcnt(0)
	v_mul_f16_sdwa v2, v17, v36 dst_sel:DWORD dst_unused:UNUSED_PAD src0_sel:DWORD src1_sel:WORD_1
	v_mul_f16_sdwa v3, v21, v37 dst_sel:DWORD dst_unused:UNUSED_PAD src0_sel:DWORD src1_sel:WORD_1
	;; [unrolled: 1-line block ×4, first 2 shown]
	v_fma_f16 v2, v69, v36, v2
	v_fma_f16 v3, v63, v37, v3
	;; [unrolled: 1-line block ×4, first 2 shown]
	v_sub_f16_e32 v10, v2, v3
	v_sub_f16_e32 v55, v30, v31
	v_add_f16_e32 v10, v10, v55
	v_mul_f16_sdwa v55, v63, v37 dst_sel:DWORD dst_unused:UNUSED_PAD src0_sel:DWORD src1_sel:WORD_1
	v_fma_f16 v21, v21, v37, -v55
	v_mul_f16_sdwa v37, v60, v38 dst_sel:DWORD dst_unused:UNUSED_PAD src0_sel:DWORD src1_sel:WORD_1
	v_fma_f16 v19, v19, v38, -v37
	v_mul_f16_sdwa v38, v69, v36 dst_sel:DWORD dst_unused:UNUSED_PAD src0_sel:DWORD src1_sel:WORD_1
	v_sub_f16_e32 v62, v3, v2
	v_sub_f16_e32 v63, v31, v30
	v_fma_f16 v17, v17, v36, -v38
	v_mul_f16_sdwa v36, v66, v39 dst_sel:DWORD dst_unused:UNUSED_PAD src0_sel:DWORD src1_sel:WORD_1
	v_add_f16_e32 v62, v62, v63
	v_add_f16_e32 v63, v2, v30
	v_sub_f16_e32 v37, v21, v19
	v_fma_f16 v20, v20, v39, -v36
	v_add_f16_e32 v38, v3, v31
	v_fma_f16 v63, v63, -0.5, v9
	v_sub_f16_e32 v36, v17, v20
	v_fma_f16 v38, v38, -0.5, v9
	v_sub_f16_e32 v55, v17, v21
	v_sub_f16_e32 v56, v20, v19
	v_fma_f16 v64, v37, s2, v63
	v_sub_f16_e32 v66, v21, v17
	v_sub_f16_e32 v67, v19, v20
	v_fma_f16 v63, v37, s3, v63
	v_fma_f16 v39, v36, s3, v38
	v_add_f16_e32 v55, v55, v56
	v_add_f16_e32 v56, v21, v19
	v_fma_f16 v64, v36, s0, v64
	v_add_f16_e32 v66, v66, v67
	v_add_f16_e32 v67, v17, v20
	v_fma_f16 v63, v36, s4, v63
	v_fma_f16 v36, v36, s2, v38
	v_fma_f16 v39, v37, s0, v39
	v_fma_f16 v56, v56, -0.5, v11
	v_sub_f16_e32 v57, v2, v30
	v_sub_f16_e32 v60, v3, v31
	v_fma_f16 v67, v67, -0.5, v11
	v_fma_f16 v36, v37, s4, v36
	v_fma_f16 v65, v59, s1, v65
	;; [unrolled: 1-line block ×14, first 2 shown]
	v_add_f16_e32 v2, v2, v9
	v_fma_f16 v77, v74, s1, v77
	v_fma_f16 v80, v78, s1, v80
	;; [unrolled: 1-line block ×7, first 2 shown]
	v_add_f16_e32 v9, v3, v2
	v_mad_u64_u32 v[2:3], s[0:1], s12, v4, 0
	v_add_f16_e32 v9, v31, v9
	v_add_f16_e32 v30, v30, v9
	v_mad_u64_u32 v[9:10], s[0:1], s13, v4, v[3:4]
	v_add_f16_e32 v11, v11, v17
	v_add_f16_e32 v3, v11, v21
	;; [unrolled: 1-line block ×4, first 2 shown]
	v_mov_b32_e32 v3, v9
	v_mad_u64_u32 v[9:10], s[0:1], s12, v14, 0
	v_mov_b32_e32 v17, s15
	v_add_co_u32_e32 v19, vcc, s14, v0
	v_addc_co_u32_e32 v17, vcc, v17, v1, vcc
	v_lshlrev_b64 v[0:1], 2, v[2:3]
	v_mov_b32_e32 v2, v10
	v_mad_u64_u32 v[2:3], s[0:1], s13, v14, v[2:3]
	v_add_co_u32_e32 v0, vcc, v19, v0
	v_addc_co_u32_e32 v1, vcc, v17, v1, vcc
	v_pack_b32_f16 v3, v11, v30
	v_mov_b32_e32 v10, v2
	global_store_dword v[0:1], v3, off
	v_lshlrev_b64 v[0:1], 2, v[9:10]
	v_add_u32_e32 v9, 0x186, v4
	v_mad_u64_u32 v[2:3], s[0:1], s12, v9, 0
	v_add_u32_e32 v20, 0x249, v4
	v_add_co_u32_e32 v0, vcc, v19, v0
	v_mad_u64_u32 v[9:10], s[0:1], s13, v9, v[3:4]
	v_mad_u64_u32 v[10:11], s[0:1], s12, v20, 0
	v_addc_co_u32_e32 v1, vcc, v17, v1, vcc
	v_pack_b32_f16 v14, v37, v36
	v_mov_b32_e32 v3, v9
	global_store_dword v[0:1], v14, off
	v_lshlrev_b64 v[0:1], 2, v[2:3]
	v_mov_b32_e32 v2, v11
	v_mad_u64_u32 v[2:3], s[0:1], s13, v20, v[2:3]
	v_add_co_u32_e32 v0, vcc, v19, v0
	v_addc_co_u32_e32 v1, vcc, v17, v1, vcc
	v_pack_b32_f16 v3, v63, v62
	v_add_u32_e32 v9, 0x30c, v4
	global_store_dword v[0:1], v3, off
	v_mov_b32_e32 v11, v2
	v_mad_u64_u32 v[2:3], s[0:1], s12, v9, 0
	v_lshlrev_b64 v[0:1], 2, v[10:11]
	v_pack_b32_f16 v14, v59, v39
	v_mad_u64_u32 v[9:10], s[0:1], s13, v9, v[3:4]
	v_add_co_u32_e32 v0, vcc, v19, v0
	v_addc_co_u32_e32 v1, vcc, v17, v1, vcc
	v_pack_b32_f16 v3, v69, v64
	global_store_dword v[0:1], v3, off
	v_mov_b32_e32 v3, v9
	v_lshlrev_b64 v[0:1], 2, v[2:3]
	v_mad_u64_u32 v[2:3], s[2:3], s12, v5, 0
	v_add_co_u32_e32 v0, vcc, v19, v0
	v_mad_u64_u32 v[9:10], s[2:3], s13, v5, v[3:4]
	v_mad_u64_u32 v[10:11], s[2:3], s12, v13, 0
	v_addc_co_u32_e32 v1, vcc, v17, v1, vcc
	v_mov_b32_e32 v3, v9
	global_store_dword v[0:1], v14, off
	v_lshlrev_b64 v[0:1], 2, v[2:3]
	v_mov_b32_e32 v2, v11
	v_mad_u64_u32 v[2:3], s[2:3], s13, v13, v[2:3]
	v_add_co_u32_e32 v0, vcc, v19, v0
	v_addc_co_u32_e32 v1, vcc, v17, v1, vcc
	v_pack_b32_f16 v3, v70, v68
	v_add_u32_e32 v5, 0x1ad, v4
	global_store_dword v[0:1], v3, off
	v_mov_b32_e32 v11, v2
	v_mad_u64_u32 v[2:3], s[2:3], s12, v5, 0
	v_lshlrev_b64 v[0:1], 2, v[10:11]
	v_pack_b32_f16 v13, v65, v58
	v_mad_u64_u32 v[9:10], s[2:3], s13, v5, v[3:4]
	v_add_u32_e32 v5, 0x270, v4
	v_mad_u64_u32 v[10:11], s[2:3], s12, v5, 0
	v_add_co_u32_e32 v0, vcc, v19, v0
	v_addc_co_u32_e32 v1, vcc, v17, v1, vcc
	v_mov_b32_e32 v3, v9
	global_store_dword v[0:1], v13, off
	v_lshlrev_b64 v[0:1], 2, v[2:3]
	v_mov_b32_e32 v2, v11
	v_mad_u64_u32 v[2:3], s[2:3], s13, v5, v[2:3]
	v_add_co_u32_e32 v0, vcc, v19, v0
	v_addc_co_u32_e32 v1, vcc, v17, v1, vcc
	v_pack_b32_f16 v3, v28, v54
	v_add_u32_e32 v4, 0x333, v4
	global_store_dword v[0:1], v3, off
	v_mov_b32_e32 v11, v2
	v_mad_u64_u32 v[2:3], s[2:3], s12, v4, 0
	s_mov_b32 s1, 0x50150151
	v_lshlrev_b64 v[0:1], 2, v[10:11]
	v_mad_u64_u32 v[3:4], s[2:3], s13, v4, v[3:4]
	v_mul_hi_u32 v4, v8, s1
	v_add_co_u32_e32 v0, vcc, v19, v0
	v_addc_co_u32_e32 v1, vcc, v17, v1, vcc
	v_pack_b32_f16 v5, v22, v53
	global_store_dword v[0:1], v5, off
	v_lshlrev_b64 v[0:1], 2, v[2:3]
	v_sub_u32_e32 v2, v8, v4
	v_lshrrev_b32_e32 v2, 1, v2
	v_add_u32_e32 v2, v2, v4
	s_movk_i32 s0, 0x30c
	v_lshrrev_b32_e32 v2, 7, v2
	v_mad_u32_u24 v8, v2, s0, v8
	v_mad_u64_u32 v[2:3], s[2:3], s12, v8, 0
	v_add_u32_e32 v10, 0xc3, v8
	v_add_co_u32_e32 v0, vcc, v19, v0
	v_mad_u64_u32 v[3:4], s[2:3], s13, v8, v[3:4]
	v_mad_u64_u32 v[4:5], s[2:3], s12, v10, 0
	v_addc_co_u32_e32 v1, vcc, v17, v1, vcc
	v_pack_b32_f16 v9, v29, v52
	global_store_dword v[0:1], v9, off
	v_lshlrev_b64 v[0:1], 2, v[2:3]
	v_mov_b32_e32 v2, v5
	v_mad_u64_u32 v[2:3], s[2:3], s13, v10, v[2:3]
	v_add_co_u32_e32 v0, vcc, v19, v0
	v_addc_co_u32_e32 v1, vcc, v17, v1, vcc
	v_pack_b32_f16 v3, v33, v49
	v_mov_b32_e32 v5, v2
	global_store_dword v[0:1], v3, off
	v_lshlrev_b64 v[0:1], 2, v[4:5]
	v_add_u32_e32 v4, 0x186, v8
	v_mad_u64_u32 v[2:3], s[2:3], s12, v4, 0
	v_add_u32_e32 v10, 0x249, v8
	v_add_co_u32_e32 v0, vcc, v19, v0
	v_mad_u64_u32 v[3:4], s[2:3], s13, v4, v[3:4]
	v_mad_u64_u32 v[4:5], s[2:3], s12, v10, 0
	v_addc_co_u32_e32 v1, vcc, v17, v1, vcc
	v_pack_b32_f16 v9, v43, v50
	global_store_dword v[0:1], v9, off
	v_lshlrev_b64 v[0:1], 2, v[2:3]
	v_mov_b32_e32 v2, v5
	v_mad_u64_u32 v[2:3], s[2:3], s13, v10, v[2:3]
	v_add_co_u32_e32 v0, vcc, v19, v0
	v_addc_co_u32_e32 v1, vcc, v17, v1, vcc
	v_pack_b32_f16 v3, v51, v74
	v_mov_b32_e32 v5, v2
	global_store_dword v[0:1], v3, off
	v_lshlrev_b64 v[0:1], 2, v[4:5]
	v_add_u32_e32 v4, 0x30c, v8
	v_mad_u64_u32 v[2:3], s[2:3], s12, v4, 0
	v_mul_hi_u32 v5, v7, s1
	v_add_co_u32_e32 v0, vcc, v19, v0
	v_mad_u64_u32 v[3:4], s[2:3], s13, v4, v[3:4]
	v_addc_co_u32_e32 v1, vcc, v17, v1, vcc
	v_pack_b32_f16 v4, v80, v77
	global_store_dword v[0:1], v4, off
	v_lshlrev_b64 v[0:1], 2, v[2:3]
	v_sub_u32_e32 v2, v7, v5
	v_lshrrev_b32_e32 v2, 1, v2
	v_add_u32_e32 v2, v2, v5
	v_lshrrev_b32_e32 v2, 7, v2
	v_mad_u32_u24 v7, v2, s0, v7
	v_mad_u64_u32 v[2:3], s[2:3], s12, v7, 0
	v_add_u32_e32 v9, 0xc3, v7
	v_add_co_u32_e32 v0, vcc, v19, v0
	v_mad_u64_u32 v[3:4], s[2:3], s13, v7, v[3:4]
	v_mad_u64_u32 v[4:5], s[2:3], s12, v9, 0
	v_addc_co_u32_e32 v1, vcc, v17, v1, vcc
	v_pack_b32_f16 v8, v72, v61
	global_store_dword v[0:1], v8, off
	v_lshlrev_b64 v[0:1], 2, v[2:3]
	v_mov_b32_e32 v2, v5
	v_mad_u64_u32 v[2:3], s[2:3], s13, v9, v[2:3]
	v_add_co_u32_e32 v0, vcc, v19, v0
	v_addc_co_u32_e32 v1, vcc, v17, v1, vcc
	v_pack_b32_f16 v3, v42, v48
	v_mov_b32_e32 v5, v2
	global_store_dword v[0:1], v3, off
	v_lshlrev_b64 v[0:1], 2, v[4:5]
	v_add_u32_e32 v4, 0x186, v7
	v_mad_u64_u32 v[2:3], s[2:3], s12, v4, 0
	v_add_u32_e32 v9, 0x249, v7
	v_add_co_u32_e32 v0, vcc, v19, v0
	v_mad_u64_u32 v[3:4], s[2:3], s13, v4, v[3:4]
	v_mad_u64_u32 v[4:5], s[2:3], s12, v9, 0
	v_addc_co_u32_e32 v1, vcc, v17, v1, vcc
	v_pack_b32_f16 v8, v47, v46
	global_store_dword v[0:1], v8, off
	v_lshlrev_b64 v[0:1], 2, v[2:3]
	v_mov_b32_e32 v2, v5
	v_mad_u64_u32 v[2:3], s[2:3], s13, v9, v[2:3]
	v_add_co_u32_e32 v0, vcc, v19, v0
	v_addc_co_u32_e32 v1, vcc, v17, v1, vcc
	v_pack_b32_f16 v3, v45, v44
	v_mov_b32_e32 v5, v2
	global_store_dword v[0:1], v3, off
	v_lshlrev_b64 v[0:1], 2, v[4:5]
	v_add_u32_e32 v4, 0x30c, v7
	v_mad_u64_u32 v[2:3], s[2:3], s12, v4, 0
	v_mul_hi_u32 v5, v6, s1
	v_add_co_u32_e32 v0, vcc, v19, v0
	v_mad_u64_u32 v[3:4], s[2:3], s13, v4, v[3:4]
	v_sub_u32_e32 v4, v6, v5
	v_lshrrev_b32_e32 v4, 1, v4
	v_add_u32_e32 v4, v4, v5
	v_lshrrev_b32_e32 v4, 7, v4
	v_mad_u32_u24 v6, v4, s0, v6
	v_mad_u64_u32 v[4:5], s[0:1], s12, v6, 0
	v_addc_co_u32_e32 v1, vcc, v17, v1, vcc
	v_pack_b32_f16 v7, v41, v40
	global_store_dword v[0:1], v7, off
	v_lshlrev_b64 v[0:1], 2, v[2:3]
	v_mov_b32_e32 v2, v5
	v_mad_u64_u32 v[2:3], s[0:1], s13, v6, v[2:3]
	v_add_co_u32_e32 v0, vcc, v19, v0
	v_addc_co_u32_e32 v1, vcc, v17, v1, vcc
	v_pack_b32_f16 v3, v35, v34
	v_mov_b32_e32 v5, v2
	global_store_dword v[0:1], v3, off
	v_lshlrev_b64 v[0:1], 2, v[4:5]
	v_add_u32_e32 v4, 0xc3, v6
	v_mad_u64_u32 v[2:3], s[0:1], s12, v4, 0
	v_add_u32_e32 v8, 0x186, v6
	v_add_co_u32_e32 v0, vcc, v19, v0
	v_mad_u64_u32 v[3:4], s[0:1], s13, v4, v[3:4]
	v_mad_u64_u32 v[4:5], s[0:1], s12, v8, 0
	v_addc_co_u32_e32 v1, vcc, v17, v1, vcc
	v_pack_b32_f16 v7, v32, v26
	global_store_dword v[0:1], v7, off
	v_lshlrev_b64 v[0:1], 2, v[2:3]
	v_mov_b32_e32 v2, v5
	v_mad_u64_u32 v[2:3], s[0:1], s13, v8, v[2:3]
	v_add_co_u32_e32 v0, vcc, v19, v0
	v_addc_co_u32_e32 v1, vcc, v17, v1, vcc
	v_pack_b32_f16 v3, v27, v25
	v_mov_b32_e32 v5, v2
	global_store_dword v[0:1], v3, off
	v_lshlrev_b64 v[0:1], 2, v[4:5]
	v_add_u32_e32 v4, 0x249, v6
	v_mad_u64_u32 v[2:3], s[0:1], s12, v4, 0
	v_add_u32_e32 v6, 0x30c, v6
	v_add_co_u32_e32 v0, vcc, v19, v0
	v_mad_u64_u32 v[3:4], s[0:1], s13, v4, v[3:4]
	v_mad_u64_u32 v[4:5], s[0:1], s12, v6, 0
	v_addc_co_u32_e32 v1, vcc, v17, v1, vcc
	v_pack_b32_f16 v7, v24, v23
	global_store_dword v[0:1], v7, off
	v_lshlrev_b64 v[0:1], 2, v[2:3]
	v_mov_b32_e32 v2, v5
	v_mad_u64_u32 v[2:3], s[0:1], s13, v6, v[2:3]
	v_add_co_u32_e32 v0, vcc, v19, v0
	v_addc_co_u32_e32 v1, vcc, v17, v1, vcc
	v_pack_b32_f16 v3, v16, v15
	v_mov_b32_e32 v5, v2
	global_store_dword v[0:1], v3, off
	v_lshlrev_b64 v[0:1], 2, v[4:5]
	v_pack_b32_f16 v2, v18, v12
	v_add_co_u32_e32 v0, vcc, v19, v0
	v_addc_co_u32_e32 v1, vcc, v17, v1, vcc
	global_store_dword v[0:1], v2, off
.LBB0_26:
	s_endpgm
	.section	.rodata,"a",@progbits
	.p2align	6, 0x0
	.amdhsa_kernel fft_rtc_fwd_len975_factors_13_5_3_5_wgs_117_tpt_39_halfLds_half_ip_CI_sbrr_dirReg
		.amdhsa_group_segment_fixed_size 0
		.amdhsa_private_segment_fixed_size 0
		.amdhsa_kernarg_size 88
		.amdhsa_user_sgpr_count 6
		.amdhsa_user_sgpr_private_segment_buffer 1
		.amdhsa_user_sgpr_dispatch_ptr 0
		.amdhsa_user_sgpr_queue_ptr 0
		.amdhsa_user_sgpr_kernarg_segment_ptr 1
		.amdhsa_user_sgpr_dispatch_id 0
		.amdhsa_user_sgpr_flat_scratch_init 0
		.amdhsa_user_sgpr_private_segment_size 0
		.amdhsa_uses_dynamic_stack 0
		.amdhsa_system_sgpr_private_segment_wavefront_offset 0
		.amdhsa_system_sgpr_workgroup_id_x 1
		.amdhsa_system_sgpr_workgroup_id_y 0
		.amdhsa_system_sgpr_workgroup_id_z 0
		.amdhsa_system_sgpr_workgroup_info 0
		.amdhsa_system_vgpr_workitem_id 0
		.amdhsa_next_free_vgpr 113
		.amdhsa_next_free_sgpr 50
		.amdhsa_reserve_vcc 1
		.amdhsa_reserve_flat_scratch 0
		.amdhsa_float_round_mode_32 0
		.amdhsa_float_round_mode_16_64 0
		.amdhsa_float_denorm_mode_32 3
		.amdhsa_float_denorm_mode_16_64 3
		.amdhsa_dx10_clamp 1
		.amdhsa_ieee_mode 1
		.amdhsa_fp16_overflow 0
		.amdhsa_exception_fp_ieee_invalid_op 0
		.amdhsa_exception_fp_denorm_src 0
		.amdhsa_exception_fp_ieee_div_zero 0
		.amdhsa_exception_fp_ieee_overflow 0
		.amdhsa_exception_fp_ieee_underflow 0
		.amdhsa_exception_fp_ieee_inexact 0
		.amdhsa_exception_int_div_zero 0
	.end_amdhsa_kernel
	.text
.Lfunc_end0:
	.size	fft_rtc_fwd_len975_factors_13_5_3_5_wgs_117_tpt_39_halfLds_half_ip_CI_sbrr_dirReg, .Lfunc_end0-fft_rtc_fwd_len975_factors_13_5_3_5_wgs_117_tpt_39_halfLds_half_ip_CI_sbrr_dirReg
                                        ; -- End function
	.section	.AMDGPU.csdata,"",@progbits
; Kernel info:
; codeLenInByte = 18472
; NumSgprs: 54
; NumVgprs: 113
; ScratchSize: 0
; MemoryBound: 0
; FloatMode: 240
; IeeeMode: 1
; LDSByteSize: 0 bytes/workgroup (compile time only)
; SGPRBlocks: 6
; VGPRBlocks: 28
; NumSGPRsForWavesPerEU: 54
; NumVGPRsForWavesPerEU: 113
; Occupancy: 2
; WaveLimiterHint : 1
; COMPUTE_PGM_RSRC2:SCRATCH_EN: 0
; COMPUTE_PGM_RSRC2:USER_SGPR: 6
; COMPUTE_PGM_RSRC2:TRAP_HANDLER: 0
; COMPUTE_PGM_RSRC2:TGID_X_EN: 1
; COMPUTE_PGM_RSRC2:TGID_Y_EN: 0
; COMPUTE_PGM_RSRC2:TGID_Z_EN: 0
; COMPUTE_PGM_RSRC2:TIDIG_COMP_CNT: 0
	.type	__hip_cuid_b3786e2d6ef40b3f,@object ; @__hip_cuid_b3786e2d6ef40b3f
	.section	.bss,"aw",@nobits
	.globl	__hip_cuid_b3786e2d6ef40b3f
__hip_cuid_b3786e2d6ef40b3f:
	.byte	0                               ; 0x0
	.size	__hip_cuid_b3786e2d6ef40b3f, 1

	.ident	"AMD clang version 19.0.0git (https://github.com/RadeonOpenCompute/llvm-project roc-6.4.0 25133 c7fe45cf4b819c5991fe208aaa96edf142730f1d)"
	.section	".note.GNU-stack","",@progbits
	.addrsig
	.addrsig_sym __hip_cuid_b3786e2d6ef40b3f
	.amdgpu_metadata
---
amdhsa.kernels:
  - .args:
      - .actual_access:  read_only
        .address_space:  global
        .offset:         0
        .size:           8
        .value_kind:     global_buffer
      - .offset:         8
        .size:           8
        .value_kind:     by_value
      - .actual_access:  read_only
        .address_space:  global
        .offset:         16
        .size:           8
        .value_kind:     global_buffer
      - .actual_access:  read_only
        .address_space:  global
        .offset:         24
        .size:           8
        .value_kind:     global_buffer
      - .offset:         32
        .size:           8
        .value_kind:     by_value
      - .actual_access:  read_only
        .address_space:  global
        .offset:         40
        .size:           8
        .value_kind:     global_buffer
      - .actual_access:  read_only
        .address_space:  global
        .offset:         48
        .size:           8
        .value_kind:     global_buffer
      - .offset:         56
        .size:           4
        .value_kind:     by_value
      - .actual_access:  read_only
        .address_space:  global
        .offset:         64
        .size:           8
        .value_kind:     global_buffer
      - .actual_access:  read_only
        .address_space:  global
        .offset:         72
        .size:           8
        .value_kind:     global_buffer
      - .address_space:  global
        .offset:         80
        .size:           8
        .value_kind:     global_buffer
    .group_segment_fixed_size: 0
    .kernarg_segment_align: 8
    .kernarg_segment_size: 88
    .language:       OpenCL C
    .language_version:
      - 2
      - 0
    .max_flat_workgroup_size: 117
    .name:           fft_rtc_fwd_len975_factors_13_5_3_5_wgs_117_tpt_39_halfLds_half_ip_CI_sbrr_dirReg
    .private_segment_fixed_size: 0
    .sgpr_count:     54
    .sgpr_spill_count: 0
    .symbol:         fft_rtc_fwd_len975_factors_13_5_3_5_wgs_117_tpt_39_halfLds_half_ip_CI_sbrr_dirReg.kd
    .uniform_work_group_size: 1
    .uses_dynamic_stack: false
    .vgpr_count:     113
    .vgpr_spill_count: 0
    .wavefront_size: 64
amdhsa.target:   amdgcn-amd-amdhsa--gfx906
amdhsa.version:
  - 1
  - 2
...

	.end_amdgpu_metadata
